;; amdgpu-corpus repo=ROCm/rocFFT kind=compiled arch=gfx1100 opt=O3
	.text
	.amdgcn_target "amdgcn-amd-amdhsa--gfx1100"
	.amdhsa_code_object_version 6
	.protected	bluestein_single_back_len450_dim1_dp_op_CI_CI ; -- Begin function bluestein_single_back_len450_dim1_dp_op_CI_CI
	.globl	bluestein_single_back_len450_dim1_dp_op_CI_CI
	.p2align	8
	.type	bluestein_single_back_len450_dim1_dp_op_CI_CI,@function
bluestein_single_back_len450_dim1_dp_op_CI_CI: ; @bluestein_single_back_len450_dim1_dp_op_CI_CI
; %bb.0:
	s_load_b128 s[16:19], s[0:1], 0x28
	v_mul_u32_u24_e32 v1, 0x889, v0
	v_mov_b32_e32 v8, 0
	s_mov_b32 s2, exec_lo
	s_delay_alu instid0(VALU_DEP_2) | instskip(NEXT) | instid1(VALU_DEP_1)
	v_lshrrev_b32_e32 v1, 16, v1
	v_lshl_add_u32 v7, s15, 2, v1
	s_waitcnt lgkmcnt(0)
	s_delay_alu instid0(VALU_DEP_1)
	v_cmpx_gt_u64_e64 s[16:17], v[7:8]
	s_cbranch_execz .LBB0_15
; %bb.1:
	s_clause 0x1
	s_load_b128 s[4:7], s[0:1], 0x18
	s_load_b64 s[12:13], s[0:1], 0x0
	v_mul_lo_u16 v2, v1, 30
	s_delay_alu instid0(VALU_DEP_1) | instskip(NEXT) | instid1(VALU_DEP_1)
	v_sub_nc_u16 v20, v0, v2
	v_and_b32_e32 v22, 0xffff, v20
	s_waitcnt lgkmcnt(0)
	s_load_b128 s[8:11], s[4:5], 0x0
	s_waitcnt lgkmcnt(0)
	v_mad_u64_u32 v[2:3], null, s10, v7, 0
	v_mad_u64_u32 v[4:5], null, s8, v22, 0
	s_mul_i32 s3, s9, 45
	s_mul_hi_u32 s4, s8, 45
	s_delay_alu instid0(SALU_CYCLE_1) | instskip(NEXT) | instid1(VALU_DEP_1)
	s_add_i32 s3, s4, s3
	v_dual_mov_b32 v0, v3 :: v_dual_mov_b32 v3, v5
	v_lshlrev_b32_e32 v21, 4, v22
	v_mov_b32_e32 v5, v7
	s_delay_alu instid0(VALU_DEP_2)
	v_add_co_u32 v8, s2, s12, v21
	scratch_store_b64 off, v[5:6], off offset:16 ; 8-byte Folded Spill
	v_mad_u64_u32 v[5:6], null, s11, v7, v[0:1]
	v_mad_u64_u32 v[6:7], null, s9, v22, v[3:4]
	v_add_co_ci_u32_e64 v9, null, s13, 0, s2
	s_mul_i32 s2, s8, 45
	s_clause 0x3
	global_load_b128 v[23:26], v21, s[12:13]
	global_load_b128 v[27:30], v21, s[12:13] offset:720
	global_load_b128 v[31:34], v21, s[12:13] offset:1440
	;; [unrolled: 1-line block ×3, first 2 shown]
	v_mov_b32_e32 v3, v5
	s_lshl_b64 s[14:15], s[2:3], 4
	v_mov_b32_e32 v5, v6
	s_clause 0x1
	global_load_b128 v[104:107], v21, s[12:13] offset:2880
	global_load_b128 v[108:111], v21, s[12:13] offset:3600
	scratch_store_b64 off, v[8:9], off      ; 8-byte Folded Spill
	v_lshlrev_b64 v[2:3], 4, v[2:3]
	s_load_b64 s[10:11], s[0:1], 0x38
	v_lshlrev_b64 v[4:5], 4, v[4:5]
	s_delay_alu instid0(VALU_DEP_2) | instskip(NEXT) | instid1(VALU_DEP_3)
	v_add_co_u32 v0, vcc_lo, s18, v2
	v_add_co_ci_u32_e32 v3, vcc_lo, s19, v3, vcc_lo
	s_delay_alu instid0(VALU_DEP_2) | instskip(NEXT) | instid1(VALU_DEP_2)
	v_add_co_u32 v2, vcc_lo, v0, v4
	v_add_co_ci_u32_e32 v3, vcc_lo, v3, v5, vcc_lo
	v_and_b32_e32 v0, 3, v1
	s_delay_alu instid0(VALU_DEP_3) | instskip(NEXT) | instid1(VALU_DEP_3)
	v_add_co_u32 v4, vcc_lo, v2, s14
	v_add_co_ci_u32_e32 v5, vcc_lo, s15, v3, vcc_lo
	s_delay_alu instid0(VALU_DEP_3) | instskip(NEXT) | instid1(VALU_DEP_3)
	v_mul_u32_u24_e32 v0, 0x1c2, v0
	v_add_co_u32 v6, vcc_lo, v4, s14
	s_delay_alu instid0(VALU_DEP_3) | instskip(SKIP_2) | instid1(VALU_DEP_4)
	v_add_co_ci_u32_e32 v7, vcc_lo, s15, v5, vcc_lo
	v_add_co_u32 v12, vcc_lo, 0x1000, v8
	v_add_co_ci_u32_e32 v13, vcc_lo, 0, v9, vcc_lo
	v_add_co_u32 v8, vcc_lo, v6, s14
	s_delay_alu instid0(VALU_DEP_4)
	v_add_co_ci_u32_e32 v9, vcc_lo, s15, v7, vcc_lo
	s_clause 0x1
	global_load_b128 v[112:115], v[12:13], off offset:224
	global_load_b128 v[116:119], v[12:13], off offset:944
	v_add_co_u32 v10, vcc_lo, v8, s14
	v_add_co_ci_u32_e32 v11, vcc_lo, s15, v9, vcc_lo
	s_clause 0x1
	global_load_b128 v[42:45], v[2:3], off
	global_load_b128 v[46:49], v[4:5], off
	v_add_co_u32 v2, vcc_lo, v10, s14
	v_add_co_ci_u32_e32 v3, vcc_lo, s15, v11, vcc_lo
	s_clause 0x1
	global_load_b128 v[50:53], v[6:7], off
	global_load_b128 v[54:57], v[8:9], off
	v_add_co_u32 v4, vcc_lo, v2, s14
	v_add_co_ci_u32_e32 v5, vcc_lo, s15, v3, vcc_lo
	global_load_b128 v[62:65], v[2:3], off
	v_add_co_u32 v6, vcc_lo, v4, s14
	v_add_co_ci_u32_e32 v7, vcc_lo, s15, v5, vcc_lo
	;; [unrolled: 3-line block ×4, first 2 shown]
	global_load_b128 v[70:73], v[6:7], off
	global_load_b128 v[74:77], v[2:3], off
	global_load_b128 v[124:127], v[12:13], off offset:1664
	scratch_store_b64 off, v[12:13], off offset:8 ; 8-byte Folded Spill
	global_load_b128 v[120:123], v[12:13], off offset:2384
	global_load_b128 v[78:81], v[40:41], off
	s_load_b128 s[4:7], s[6:7], 0x0
	v_cmp_gt_u16_e32 vcc_lo, 15, v20
	s_waitcnt vmcnt(19)
	scratch_store_b128 off, v[23:26], off offset:28 ; 16-byte Folded Spill
	s_waitcnt vmcnt(18)
	scratch_store_b128 off, v[27:30], off offset:44 ; 16-byte Folded Spill
	;; [unrolled: 2-line block ×8, first 2 shown]
	s_waitcnt vmcnt(11)
	v_mul_f64 v[2:3], v[44:45], v[25:26]
	v_mul_f64 v[4:5], v[42:43], v[25:26]
	s_waitcnt vmcnt(10)
	v_mul_f64 v[6:7], v[48:49], v[29:30]
	v_mul_f64 v[8:9], v[46:47], v[29:30]
	;; [unrolled: 3-line block ×10, first 2 shown]
	s_clause 0x1
	scratch_store_b128 off, v[124:127], off offset:172
	scratch_store_b128 off, v[120:123], off offset:156
	v_fma_f64 v[42:43], v[42:43], v[23:24], v[2:3]
	v_fma_f64 v[44:45], v[44:45], v[23:24], -v[4:5]
	v_fma_f64 v[46:47], v[46:47], v[27:28], v[6:7]
	v_fma_f64 v[48:49], v[48:49], v[27:28], -v[8:9]
	v_lshlrev_b32_e32 v28, 4, v0
	v_fma_f64 v[50:51], v[50:51], v[31:32], v[10:11]
	v_fma_f64 v[52:53], v[52:53], v[31:32], -v[12:13]
	v_fma_f64 v[54:55], v[54:55], v[35:36], v[14:15]
	v_fma_f64 v[56:57], v[56:57], v[35:36], -v[16:17]
	v_add_nc_u32_e32 v253, v28, v21
	v_fma_f64 v[62:63], v[62:63], v[108:109], v[84:85]
	v_fma_f64 v[64:65], v[64:65], v[108:109], -v[86:87]
	v_fma_f64 v[66:67], v[66:67], v[112:113], v[88:89]
	v_fma_f64 v[68:69], v[68:69], v[112:113], -v[90:91]
	;; [unrolled: 2-line block ×3, first 2 shown]
	ds_store_b128 v253, v[42:45]
	ds_store_b128 v253, v[46:49] offset:720
	ds_store_b128 v253, v[50:53] offset:1440
	;; [unrolled: 1-line block ×5, first 2 shown]
	v_fma_f64 v[70:71], v[70:71], v[116:117], v[92:93]
	v_fma_f64 v[72:73], v[72:73], v[116:117], -v[94:95]
	v_fma_f64 v[74:75], v[74:75], v[124:125], v[96:97]
	v_fma_f64 v[76:77], v[76:77], v[124:125], -v[98:99]
	;; [unrolled: 2-line block ×3, first 2 shown]
	ds_store_b128 v253, v[66:69] offset:4320
	ds_store_b128 v253, v[70:73] offset:5040
	;; [unrolled: 1-line block ×4, first 2 shown]
	s_and_saveexec_b32 s3, vcc_lo
	s_cbranch_execz .LBB0_3
; %bb.2:
	scratch_load_b64 v[12:13], off, off     ; 8-byte Folded Reload
	v_mad_u64_u32 v[4:5], null, 0xffffe890, s8, v[40:41]
	s_mul_i32 s2, s9, 0xffffe890
	s_waitcnt vmcnt(0)
	s_clause 0x1
	global_load_b128 v[0:3], v[12:13], off offset:480
	global_load_b128 v[40:43], v[12:13], off offset:1200
	s_sub_i32 s2, s2, s8
	s_clause 0x1
	global_load_b128 v[44:47], v[12:13], off offset:1920
	global_load_b128 v[48:51], v[12:13], off offset:2640
	v_add_nc_u32_e32 v5, s2, v5
	v_add_co_u32 v6, s2, v4, s14
	s_clause 0x1
	global_load_b128 v[52:55], v[12:13], off offset:3360
	global_load_b128 v[56:59], v[12:13], off offset:4080
	v_add_co_ci_u32_e64 v7, s2, s15, v5, s2
	v_add_co_u32 v8, s2, v6, s14
	global_load_b128 v[60:63], v[4:5], off
	v_add_co_ci_u32_e64 v9, s2, s15, v7, s2
	v_add_co_u32 v10, s2, v8, s14
	global_load_b128 v[64:67], v[6:7], off
	v_add_co_ci_u32_e64 v11, s2, s15, v9, s2
	v_add_co_u32 v12, s2, v10, s14
	s_delay_alu instid0(VALU_DEP_1) | instskip(NEXT) | instid1(VALU_DEP_2)
	v_add_co_ci_u32_e64 v13, s2, s15, v11, s2
	v_add_co_u32 v4, s2, v12, s14
	s_delay_alu instid0(VALU_DEP_1) | instskip(NEXT) | instid1(VALU_DEP_2)
	v_add_co_ci_u32_e64 v5, s2, s15, v13, s2
	v_add_co_u32 v6, s2, v4, s14
	s_delay_alu instid0(VALU_DEP_1)
	v_add_co_ci_u32_e64 v7, s2, s15, v5, s2
	global_load_b128 v[68:71], v[8:9], off
	global_load_b128 v[72:75], v[10:11], off
	;; [unrolled: 1-line block ×5, first 2 shown]
	scratch_load_b64 v[8:9], off, off offset:8 ; 8-byte Folded Reload
	v_add_co_u32 v4, s2, v6, s14
	s_delay_alu instid0(VALU_DEP_1) | instskip(NEXT) | instid1(VALU_DEP_2)
	v_add_co_ci_u32_e64 v5, s2, s15, v7, s2
	v_add_co_u32 v6, s2, v4, s14
	s_delay_alu instid0(VALU_DEP_1) | instskip(SKIP_2) | instid1(VALU_DEP_1)
	v_add_co_ci_u32_e64 v7, s2, s15, v5, s2
	global_load_b128 v[92:95], v[4:5], off
	v_add_co_u32 v4, s2, v6, s14
	v_add_co_ci_u32_e64 v5, s2, s15, v7, s2
	s_waitcnt vmcnt(6)
	v_mul_f64 v[10:11], v[70:71], v[46:47]
	v_mul_f64 v[12:13], v[68:69], v[46:47]
	s_waitcnt vmcnt(5)
	v_mul_f64 v[14:15], v[74:75], v[50:51]
	v_mul_f64 v[16:17], v[72:73], v[50:51]
	s_waitcnt vmcnt(4)
	v_mul_f64 v[18:19], v[78:79], v[54:55]
	s_waitcnt vmcnt(1)
	s_clause 0x1
	global_load_b128 v[88:91], v[8:9], off offset:704
	global_load_b128 v[96:99], v[8:9], off offset:1424
	global_load_b128 v[100:103], v[6:7], off
	s_clause 0x1
	global_load_b128 v[104:107], v[8:9], off offset:2144
	global_load_b128 v[108:111], v[8:9], off offset:2864
	global_load_b128 v[112:115], v[4:5], off
	v_mul_f64 v[4:5], v[62:63], v[2:3]
	v_mul_f64 v[2:3], v[60:61], v[2:3]
	;; [unrolled: 1-line block ×7, first 2 shown]
	v_fma_f64 v[42:43], v[70:71], v[44:45], -v[12:13]
	v_fma_f64 v[46:47], v[74:75], v[48:49], -v[16:17]
	v_fma_f64 v[58:59], v[60:61], v[0:1], v[4:5]
	v_fma_f64 v[60:61], v[62:63], v[0:1], -v[2:3]
	v_fma_f64 v[0:1], v[64:65], v[40:41], v[6:7]
	;; [unrolled: 2-line block ×3, first 2 shown]
	v_fma_f64 v[44:45], v[72:73], v[48:49], v[14:15]
	v_fma_f64 v[48:49], v[76:77], v[52:53], v[18:19]
	v_fma_f64 v[50:51], v[78:79], v[52:53], -v[50:51]
	v_fma_f64 v[52:53], v[80:81], v[56:57], v[54:55]
	v_fma_f64 v[54:55], v[82:83], v[56:57], -v[116:117]
	s_waitcnt vmcnt(4)
	v_mul_f64 v[120:121], v[94:95], v[98:99]
	v_mul_f64 v[98:99], v[92:93], v[98:99]
	s_waitcnt vmcnt(2)
	v_mul_f64 v[122:123], v[102:103], v[106:107]
	v_mul_f64 v[118:119], v[86:87], v[90:91]
	;; [unrolled: 1-line block ×4, first 2 shown]
	s_waitcnt vmcnt(0)
	v_mul_f64 v[124:125], v[114:115], v[110:111]
	v_mul_f64 v[110:111], v[112:113], v[110:111]
	v_fma_f64 v[66:67], v[92:93], v[96:97], v[120:121]
	v_fma_f64 v[68:69], v[94:95], v[96:97], -v[98:99]
	v_fma_f64 v[70:71], v[100:101], v[104:105], v[122:123]
	v_fma_f64 v[62:63], v[84:85], v[88:89], v[118:119]
	v_fma_f64 v[64:65], v[86:87], v[88:89], -v[90:91]
	v_fma_f64 v[72:73], v[102:103], v[104:105], -v[106:107]
	v_fma_f64 v[74:75], v[112:113], v[108:109], v[124:125]
	v_fma_f64 v[76:77], v[114:115], v[108:109], -v[110:111]
	ds_store_b128 v253, v[58:61] offset:480
	ds_store_b128 v253, v[0:3] offset:1200
	;; [unrolled: 1-line block ×10, first 2 shown]
.LBB0_3:
	s_or_b32 exec_lo, exec_lo, s3
	s_waitcnt lgkmcnt(0)
	s_waitcnt_vscnt null, 0x0
	s_barrier
	buffer_gl0_inv
	ds_load_b128 v[96:99], v253
	ds_load_b128 v[108:111], v253 offset:720
	ds_load_b128 v[116:119], v253 offset:1440
	;; [unrolled: 1-line block ×9, first 2 shown]
	s_load_b64 s[2:3], s[0:1], 0x8
                                        ; implicit-def: $vgpr80_vgpr81
                                        ; implicit-def: $vgpr100_vgpr101
                                        ; implicit-def: $vgpr60_vgpr61
                                        ; implicit-def: $vgpr112_vgpr113
                                        ; implicit-def: $vgpr84_vgpr85
                                        ; implicit-def: $vgpr88_vgpr89
                                        ; implicit-def: $vgpr76_vgpr77
                                        ; implicit-def: $vgpr72_vgpr73
                                        ; implicit-def: $vgpr56_vgpr57
                                        ; implicit-def: $vgpr64_vgpr65
	s_and_saveexec_b32 s0, vcc_lo
	s_cbranch_execz .LBB0_5
; %bb.4:
	ds_load_b128 v[80:83], v253 offset:480
	ds_load_b128 v[100:103], v253 offset:1200
	;; [unrolled: 1-line block ×10, first 2 shown]
.LBB0_5:
	s_or_b32 exec_lo, exec_lo, s0
	s_waitcnt lgkmcnt(0)
	v_add_f64 v[0:1], v[92:93], v[68:69]
	v_add_f64 v[2:3], v[96:97], v[116:117]
	;; [unrolled: 1-line block ×3, first 2 shown]
	v_add_f64 v[6:7], v[118:119], -v[46:47]
	v_add_f64 v[8:9], v[104:105], v[40:41]
	v_add_f64 v[12:13], v[106:107], v[42:43]
	;; [unrolled: 1-line block ×10, first 2 shown]
	s_mov_b32 s0, 0x134454ff
	s_mov_b32 s1, 0x3fee6f0e
	v_add_f64 v[10:11], v[94:95], -v[70:71]
	v_add_f64 v[16:17], v[116:117], -v[92:93]
	;; [unrolled: 1-line block ×5, first 2 shown]
	v_add_f64 v[126:127], v[98:99], v[118:119]
	v_add_f64 v[116:117], v[116:117], -v[44:45]
	v_add_f64 v[130:131], v[92:93], -v[68:69]
	v_add_f64 v[140:141], v[108:109], v[104:105]
	v_add_f64 v[148:149], v[106:107], -v[42:43]
	v_add_f64 v[150:151], v[54:55], -v[50:51]
	;; [unrolled: 1-line block ×10, first 2 shown]
	s_mov_b32 s14, 0x4755a5e
	s_mov_b32 s15, 0x3fe2cf23
	;; [unrolled: 1-line block ×3, first 2 shown]
	v_fma_f64 v[0:1], v[0:1], -0.5, v[96:97]
	v_add_f64 v[2:3], v[2:3], v[92:93]
	v_fma_f64 v[4:5], v[4:5], -0.5, v[108:109]
	v_add_f64 v[92:93], v[114:115], -v[66:67]
	v_fma_f64 v[8:9], v[8:9], -0.5, v[108:109]
	v_add_f64 v[108:109], v[52:53], -v[48:49]
	v_fma_f64 v[12:13], v[12:13], -0.5, v[110:111]
	v_fma_f64 v[14:15], v[14:15], -0.5, v[110:111]
	;; [unrolled: 1-line block ×3, first 2 shown]
	v_add_f64 v[120:121], v[90:91], -v[74:75]
	v_fma_f64 v[128:129], v[128:129], -0.5, v[98:99]
	v_fma_f64 v[142:143], v[142:143], -0.5, v[100:101]
	;; [unrolled: 1-line block ×5, first 2 shown]
	v_add_f64 v[136:137], v[112:113], -v[64:65]
	v_fma_f64 v[156:157], v[156:157], -0.5, v[102:103]
	s_mov_b32 s18, s0
	v_add_f64 v[132:133], v[118:119], -v[94:95]
	v_add_f64 v[134:135], v[46:47], -v[70:71]
	;; [unrolled: 1-line block ×4, first 2 shown]
	v_add_f64 v[110:111], v[110:111], v[106:107]
	v_add_f64 v[106:107], v[54:55], -v[106:107]
	v_add_f64 v[166:167], v[50:51], -v[42:43]
	v_add_f64 v[170:171], v[84:85], v[76:77]
	v_add_f64 v[176:177], v[60:61], v[56:57]
	;; [unrolled: 1-line block ×5, first 2 shown]
	v_add_f64 v[194:195], v[112:113], -v[88:89]
	v_add_f64 v[198:199], v[64:65], -v[72:73]
	;; [unrolled: 1-line block ×4, first 2 shown]
	v_add_f64 v[102:103], v[102:103], v[114:115]
	v_add_f64 v[206:207], v[114:115], -v[90:91]
	v_add_f64 v[208:209], v[66:67], -v[74:75]
	;; [unrolled: 1-line block ×3, first 2 shown]
	v_fma_f64 v[190:191], v[6:7], s[0:1], v[0:1]
	v_add_f64 v[210:211], v[74:75], -v[66:67]
	v_fma_f64 v[192:193], v[148:149], s[0:1], v[4:5]
	v_fma_f64 v[4:5], v[148:149], s[18:19], v[4:5]
	;; [unrolled: 1-line block ×7, first 2 shown]
	v_add_f64 v[16:17], v[16:17], v[18:19]
	v_add_f64 v[18:19], v[122:123], v[124:125]
	;; [unrolled: 1-line block ×7, first 2 shown]
	v_fma_f64 v[0:1], v[6:7], s[18:19], v[0:1]
	v_fma_f64 v[68:69], v[10:11], s[18:19], v[96:97]
	;; [unrolled: 1-line block ×11, first 2 shown]
	s_mov_b32 s17, 0xbfe2cf23
	s_mov_b32 s16, s14
	v_add_f64 v[168:169], v[80:81], v[60:61]
	v_add_f64 v[172:173], v[62:63], -v[58:59]
	v_add_f64 v[174:175], v[86:87], -v[78:79]
	v_add_f64 v[178:179], v[82:83], v[62:63]
	v_add_f64 v[182:183], v[60:61], -v[56:57]
	v_add_f64 v[184:185], v[84:85], -v[76:77]
	v_fma_f64 v[162:163], v[130:131], s[0:1], v[98:99]
	v_add_f64 v[106:107], v[106:107], v[166:167]
	v_fma_f64 v[14:15], v[104:105], s[18:19], v[14:15]
	v_fma_f64 v[164:165], v[10:11], s[14:15], v[190:191]
	;; [unrolled: 1-line block ×10, first 2 shown]
	v_add_f64 v[104:105], v[132:133], v[134:135]
	v_fma_f64 v[132:133], v[170:171], -0.5, v[80:81]
	v_add_f64 v[118:119], v[118:119], v[138:139]
	v_add_f64 v[52:53], v[140:141], v[52:53]
	v_fma_f64 v[80:81], v[176:177], -0.5, v[80:81]
	v_fma_f64 v[134:135], v[180:181], -0.5, v[82:83]
	;; [unrolled: 1-line block ×3, first 2 shown]
	v_add_f64 v[138:139], v[194:195], v[198:199]
	v_add_f64 v[112:113], v[112:113], v[204:205]
	;; [unrolled: 1-line block ×5, first 2 shown]
	v_fma_f64 v[94:95], v[130:131], s[18:19], v[98:99]
	v_fma_f64 v[98:99], v[136:137], s[18:19], v[156:157]
	v_add_f64 v[2:3], v[2:3], v[44:45]
	v_fma_f64 v[0:1], v[10:11], s[16:17], v[0:1]
	v_fma_f64 v[10:11], v[6:7], s[14:15], v[68:69]
	;; [unrolled: 1-line block ×11, first 2 shown]
	s_mov_b32 s8, 0x372fe950
	s_mov_b32 s9, 0x3fd3c6ef
	v_fma_f64 v[142:143], v[116:117], s[16:17], v[162:163]
	v_fma_f64 v[144:145], v[16:17], s[8:9], v[164:165]
	;; [unrolled: 1-line block ×4, first 2 shown]
	v_add_f64 v[54:55], v[110:111], v[54:55]
	v_fma_f64 v[4:5], v[122:123], s[8:9], v[4:5]
	v_fma_f64 v[110:111], v[124:125], s[8:9], v[150:151]
	;; [unrolled: 1-line block ×7, first 2 shown]
	v_add_f64 v[106:107], v[168:169], v[84:85]
	v_fma_f64 v[124:125], v[172:173], s[0:1], v[132:133]
	v_add_f64 v[148:149], v[60:61], -v[84:85]
	v_add_f64 v[150:151], v[56:57], -v[76:77]
	v_fma_f64 v[132:133], v[172:173], s[18:19], v[132:133]
	v_fma_f64 v[154:155], v[174:175], s[18:19], v[80:81]
	v_add_f64 v[60:61], v[84:85], -v[60:61]
	v_add_f64 v[84:85], v[76:77], -v[56:57]
	v_fma_f64 v[80:81], v[174:175], s[0:1], v[80:81]
	v_add_f64 v[156:157], v[178:179], v[86:87]
	v_fma_f64 v[158:159], v[182:183], s[18:19], v[134:135]
	v_add_f64 v[160:161], v[62:63], -v[86:87]
	v_add_f64 v[162:163], v[58:59], -v[78:79]
	v_fma_f64 v[134:135], v[182:183], s[0:1], v[134:135]
	v_fma_f64 v[164:165], v[184:185], s[0:1], v[82:83]
	v_add_f64 v[62:63], v[86:87], -v[62:63]
	v_add_f64 v[86:87], v[78:79], -v[58:59]
	v_fma_f64 v[82:83], v[184:185], s[18:19], v[82:83]
	v_add_f64 v[88:89], v[100:101], v[88:89]
	v_fma_f64 v[98:99], v[188:189], s[16:17], v[98:99]
	v_fma_f64 v[96:97], v[138:139], s[8:9], v[96:97]
	;; [unrolled: 1-line block ×5, first 2 shown]
	v_add_f64 v[90:91], v[102:103], v[90:91]
	v_fma_f64 v[92:93], v[112:113], s[8:9], v[92:93]
	v_fma_f64 v[102:103], v[114:115], s[8:9], v[136:137]
	s_mov_b32 s20, 0x9b97f4a8
	v_fma_f64 v[112:113], v[140:141], s[8:9], v[146:147]
	s_mov_b32 s21, 0x3fe9e377
	v_fma_f64 v[94:95], v[116:117], s[14:15], v[94:95]
	v_add_f64 v[48:49], v[52:53], v[48:49]
	v_add_f64 v[50:51], v[54:55], v[50:51]
	v_fma_f64 v[14:15], v[126:127], s[8:9], v[14:15]
	v_mul_f64 v[52:53], v[152:153], s[20:21]
	v_mul_f64 v[54:55], v[108:109], s[0:1]
	;; [unrolled: 1-line block ×5, first 2 shown]
	v_add_f64 v[76:77], v[106:107], v[76:77]
	v_fma_f64 v[106:107], v[174:175], s[14:15], v[124:125]
	v_add_f64 v[124:125], v[148:149], v[150:151]
	v_fma_f64 v[132:133], v[174:175], s[16:17], v[132:133]
	v_fma_f64 v[146:147], v[172:173], s[14:15], v[154:155]
	v_mul_f64 v[114:115], v[8:9], s[8:9]
	v_add_f64 v[60:61], v[60:61], v[84:85]
	v_fma_f64 v[80:81], v[172:173], s[16:17], v[80:81]
	v_add_f64 v[78:79], v[156:157], v[78:79]
	v_fma_f64 v[84:85], v[184:185], s[16:17], v[158:159]
	v_mul_f64 v[136:137], v[12:13], s[8:9]
	v_add_f64 v[148:149], v[160:161], v[162:163]
	v_fma_f64 v[134:135], v[184:185], s[14:15], v[134:135]
	v_fma_f64 v[150:151], v[182:183], s[16:17], v[164:165]
	v_mul_f64 v[116:117], v[4:5], s[20:21]
	v_add_f64 v[62:63], v[62:63], v[86:87]
	v_fma_f64 v[86:87], v[182:183], s[14:15], v[82:83]
	v_add_f64 v[72:73], v[88:89], v[72:73]
	v_fma_f64 v[98:99], v[140:141], s[8:9], v[98:99]
	v_mul_f64 v[140:141], v[96:97], s[20:21]
	v_mul_f64 v[152:153], v[100:101], s[0:1]
	;; [unrolled: 1-line block ×4, first 2 shown]
	v_add_f64 v[158:159], v[90:91], v[74:75]
	v_mul_f64 v[96:97], v[96:97], s[16:17]
	v_mul_f64 v[160:161], v[92:93], s[18:19]
	;; [unrolled: 1-line block ×4, first 2 shown]
	v_fma_f64 v[0:1], v[16:17], s[8:9], v[0:1]
	v_fma_f64 v[10:11], v[18:19], s[8:9], v[10:11]
	;; [unrolled: 1-line block ×3, first 2 shown]
	v_add_f64 v[16:17], v[70:71], v[46:47]
	v_fma_f64 v[18:19], v[104:105], s[8:9], v[44:45]
	v_fma_f64 v[68:69], v[104:105], s[8:9], v[68:69]
	;; [unrolled: 1-line block ×4, first 2 shown]
	v_add_f64 v[166:167], v[48:49], v[40:41]
	v_fma_f64 v[52:53], v[14:15], s[14:15], v[52:53]
	v_fma_f64 v[54:55], v[110:111], s[8:9], v[54:55]
	v_add_f64 v[168:169], v[50:51], v[42:43]
	v_fma_f64 v[14:15], v[14:15], s[20:21], v[126:127]
	v_fma_f64 v[130:131], v[108:109], s[8:9], v[130:131]
	v_fma_f64 v[4:5], v[4:5], s[16:17], -v[138:139]
	v_add_f64 v[42:43], v[76:77], v[56:57]
	v_fma_f64 v[44:45], v[124:125], s[8:9], v[106:107]
	v_fma_f64 v[40:41], v[124:125], s[8:9], v[132:133]
	;; [unrolled: 1-line block ×4, first 2 shown]
	v_add_f64 v[80:81], v[78:79], v[58:59]
	v_fma_f64 v[82:83], v[148:149], s[8:9], v[84:85]
	v_fma_f64 v[90:91], v[148:149], s[8:9], v[134:135]
	v_fma_f64 v[12:13], v[12:13], s[0:1], -v[114:115]
	v_fma_f64 v[8:9], v[8:9], s[18:19], -v[136:137]
	v_fma_f64 v[84:85], v[62:63], s[8:9], v[150:151]
	v_fma_f64 v[88:89], v[62:63], s[8:9], v[86:87]
	v_add_f64 v[50:51], v[72:73], v[64:65]
	v_fma_f64 v[122:123], v[122:123], s[14:15], -v[116:117]
	v_fma_f64 v[72:73], v[98:99], s[14:15], v[140:141]
	v_fma_f64 v[74:75], v[92:93], s[8:9], v[152:153]
	v_fma_f64 v[76:77], v[102:103], s[0:1], -v[154:155]
	v_fma_f64 v[78:79], v[112:113], s[14:15], -v[156:157]
	v_add_f64 v[86:87], v[158:159], v[66:67]
	v_fma_f64 v[92:93], v[98:99], s[20:21], v[96:97]
	v_fma_f64 v[94:95], v[100:101], s[8:9], v[160:161]
	v_fma_f64 v[96:97], v[128:129], s[18:19], -v[162:163]
	v_fma_f64 v[98:99], v[120:121], s[16:17], -v[164:165]
	v_add_co_u32 v156, s20, v22, 30
	s_delay_alu instid0(VALU_DEP_1)
	v_add_co_ci_u32_e64 v20, null, 0, 0, s20
	s_barrier
	buffer_gl0_inv
	v_add_f64 v[100:101], v[2:3], v[166:167]
	v_add_f64 v[104:105], v[144:145], v[52:53]
	;; [unrolled: 1-line block ×4, first 2 shown]
	v_add_f64 v[124:125], v[144:145], -v[52:53]
	v_add_f64 v[110:111], v[70:71], v[130:131]
	v_add_f64 v[118:119], v[68:69], v[4:5]
	v_add_f64 v[128:129], v[10:11], -v[54:55]
	v_add_f64 v[126:127], v[18:19], -v[14:15]
	;; [unrolled: 1-line block ×4, first 2 shown]
	v_add_f64 v[106:107], v[18:19], v[14:15]
	v_add_f64 v[120:121], v[2:3], -v[166:167]
	v_add_f64 v[132:133], v[6:7], -v[12:13]
	;; [unrolled: 1-line block ×3, first 2 shown]
	v_add_f64 v[112:113], v[6:7], v[12:13]
	v_add_f64 v[114:115], v[142:143], v[8:9]
	v_add_f64 v[52:53], v[42:43], -v[50:51]
	v_add_f64 v[136:137], v[0:1], -v[122:123]
	;; [unrolled: 1-line block ×11, first 2 shown]
	v_add_f64 v[116:117], v[0:1], v[122:123]
	v_add_f64 v[122:123], v[16:17], -v[168:169]
	v_mul_lo_u16 v0, v22, 10
	s_delay_alu instid0(VALU_DEP_1) | instskip(NEXT) | instid1(VALU_DEP_1)
	v_and_b32_e32 v0, 0xffff, v0
	v_lshl_add_u32 v255, v0, 4, v28
	v_mul_u32_u24_e32 v0, 10, v156
	ds_store_b128 v255, v[100:103]
	ds_store_b128 v255, v[104:107] offset:16
	ds_store_b128 v255, v[108:111] offset:32
	;; [unrolled: 1-line block ×5, first 2 shown]
	scratch_store_b32 off, v0, off offset:260 ; 4-byte Folded Spill
	ds_store_b128 v255, v[124:127] offset:96
	ds_store_b128 v255, v[128:131] offset:112
	;; [unrolled: 1-line block ×4, first 2 shown]
	s_and_saveexec_b32 s20, vcc_lo
	s_cbranch_execz .LBB0_7
; %bb.6:
	v_add_f64 v[104:105], v[80:81], v[86:87]
	v_add_f64 v[102:103], v[42:43], v[50:51]
	;; [unrolled: 1-line block ×10, first 2 shown]
	v_mul_u32_u24_e32 v0, 10, v156
	s_delay_alu instid0(VALU_DEP_1)
	v_lshl_add_u32 v0, v0, 4, v28
	ds_store_b128 v0, v[64:67] offset:96
	ds_store_b128 v0, v[56:59] offset:112
	ds_store_b128 v0, v[102:105]
	ds_store_b128 v0, v[98:101] offset:16
	ds_store_b128 v0, v[82:85] offset:32
	;; [unrolled: 1-line block ×7, first 2 shown]
.LBB0_7:
	s_or_b32 exec_lo, exec_lo, s20
	v_and_b32_e32 v0, 0xff, v156
	s_waitcnt lgkmcnt(0)
	s_waitcnt_vscnt null, 0x0
	s_barrier
	buffer_gl0_inv
	v_add_co_u32 v164, null, v22, 60
	v_mul_lo_u16 v0, 0xcd, v0
	s_delay_alu instid0(VALU_DEP_1) | instskip(NEXT) | instid1(VALU_DEP_1)
	v_lshrrev_b16 v0, 11, v0
	v_mul_lo_u16 v1, v0, 10
	v_and_b32_e32 v0, 0xffff, v0
	s_delay_alu instid0(VALU_DEP_2) | instskip(NEXT) | instid1(VALU_DEP_2)
	v_sub_nc_u16 v1, v156, v1
	v_mul_u32_u24_e32 v0, 50, v0
	s_delay_alu instid0(VALU_DEP_2) | instskip(NEXT) | instid1(VALU_DEP_1)
	v_and_b32_e32 v1, 0xff, v1
	v_lshlrev_b32_e32 v2, 6, v1
	s_delay_alu instid0(VALU_DEP_3)
	v_add_nc_u32_e32 v0, v0, v1
	s_clause 0x2
	global_load_b128 v[23:26], v2, s[2:3]
	global_load_b128 v[15:18], v2, s[2:3] offset:16
	global_load_b128 v[11:14], v2, s[2:3] offset:48
	ds_load_b128 v[72:75], v253 offset:1920
	ds_load_b128 v[76:79], v253 offset:3360
	v_lshl_add_u32 v254, v0, 4, v28
	ds_load_b128 v[80:83], v253 offset:3840
	ds_load_b128 v[84:87], v253 offset:5280
	;; [unrolled: 1-line block ×3, first 2 shown]
	s_waitcnt vmcnt(2) lgkmcnt(4)
	v_mul_f64 v[3:4], v[74:75], v[25:26]
	v_mul_f64 v[5:6], v[72:73], v[25:26]
	s_waitcnt vmcnt(1) lgkmcnt(3)
	v_mul_f64 v[7:8], v[78:79], v[17:18]
	v_mul_f64 v[9:10], v[76:77], v[17:18]
	scratch_store_b128 off, v[15:18], off offset:204 ; 16-byte Folded Spill
	s_waitcnt vmcnt(0)
	s_clause 0x1
	scratch_store_b128 off, v[11:14], off offset:188
	scratch_store_b128 off, v[23:26], off offset:220
	v_fma_f64 v[142:143], v[72:73], v[23:24], -v[3:4]
	v_fma_f64 v[140:141], v[74:75], v[23:24], v[5:6]
	ds_load_b128 v[72:75], v253 offset:6240
	v_fma_f64 v[148:149], v[76:77], v[15:16], -v[7:8]
	v_fma_f64 v[150:151], v[78:79], v[15:16], v[9:10]
	ds_load_b128 v[76:79], v253 offset:4800
	s_waitcnt lgkmcnt(1)
	v_mul_f64 v[3:4], v[74:75], v[13:14]
	v_mul_f64 v[5:6], v[72:73], v[13:14]
	s_delay_alu instid0(VALU_DEP_2) | instskip(NEXT) | instid1(VALU_DEP_2)
	v_fma_f64 v[146:147], v[72:73], v[11:12], -v[3:4]
	v_fma_f64 v[144:145], v[74:75], v[11:12], v[5:6]
	global_load_b128 v[72:75], v2, s[2:3] offset:32
	v_and_b32_e32 v2, 0xff, v22
	s_delay_alu instid0(VALU_DEP_1) | instskip(SKIP_4) | instid1(VALU_DEP_1)
	v_mul_lo_u16 v2, 0xcd, v2
	v_add_f64 v[18:19], v[142:143], -v[146:147]
	v_add_f64 v[12:13], v[140:141], -v[144:145]
	s_waitcnt vmcnt(0) lgkmcnt(0)
	v_mul_f64 v[3:4], v[78:79], v[74:75]
	v_fma_f64 v[154:155], v[76:77], v[72:73], -v[3:4]
	v_mul_f64 v[3:4], v[76:77], v[74:75]
	s_delay_alu instid0(VALU_DEP_2) | instskip(NEXT) | instid1(VALU_DEP_2)
	v_add_f64 v[6:7], v[146:147], -v[154:155]
	v_fma_f64 v[152:153], v[78:79], v[72:73], v[3:4]
	v_lshrrev_b16 v3, 11, v2
	ds_load_b128 v[76:79], v253 offset:1440
	v_add_f64 v[173:174], v[148:149], -v[154:155]
	v_mul_lo_u16 v2, v3, 10
	s_delay_alu instid0(VALU_DEP_1) | instskip(NEXT) | instid1(VALU_DEP_1)
	v_sub_nc_u16 v157, v22, v2
	v_lshlrev_b16 v2, 2, v157
	s_delay_alu instid0(VALU_DEP_1) | instskip(NEXT) | instid1(VALU_DEP_1)
	v_and_b32_e32 v2, 0xfc, v2
	v_lshlrev_b32_e32 v2, 4, v2
	s_clause 0x3
	global_load_b128 v[104:107], v2, s[2:3]
	global_load_b128 v[100:103], v2, s[2:3] offset:16
	global_load_b128 v[96:99], v2, s[2:3] offset:32
	;; [unrolled: 1-line block ×3, first 2 shown]
	v_and_b32_e32 v2, 0xff, v164
	v_add_f64 v[8:9], v[144:145], -v[152:153]
	v_add_f64 v[10:11], v[150:151], v[152:153]
	s_delay_alu instid0(VALU_DEP_3) | instskip(SKIP_1) | instid1(VALU_DEP_2)
	v_mul_lo_u16 v2, 0xcd, v2
	v_add_f64 v[14:15], v[150:151], -v[152:153]
	v_lshrrev_b16 v158, 11, v2
	s_delay_alu instid0(VALU_DEP_1) | instskip(SKIP_1) | instid1(VALU_DEP_2)
	v_mul_lo_u16 v2, v158, 10
	v_and_b32_e32 v0, 0xffff, v158
	v_sub_nc_u16 v2, v164, v2
	s_delay_alu instid0(VALU_DEP_2) | instskip(NEXT) | instid1(VALU_DEP_2)
	v_mul_u32_u24_e32 v0, 50, v0
	v_and_b32_e32 v159, 0xff, v2
	s_delay_alu instid0(VALU_DEP_1) | instskip(NEXT) | instid1(VALU_DEP_3)
	v_lshlrev_b32_e32 v2, 6, v159
	v_add_nc_u32_e32 v0, v0, v159
	global_load_b128 v[92:95], v2, s[2:3]
	v_lshl_add_u32 v0, v0, 4, v28
	s_waitcnt vmcnt(4) lgkmcnt(0)
	v_mul_f64 v[4:5], v[78:79], v[106:107]
	s_delay_alu instid0(VALU_DEP_1) | instskip(SKIP_1) | instid1(VALU_DEP_1)
	v_fma_f64 v[124:125], v[76:77], v[104:105], -v[4:5]
	v_mul_f64 v[4:5], v[76:77], v[106:107]
	v_fma_f64 v[126:127], v[78:79], v[104:105], v[4:5]
	ds_load_b128 v[76:79], v253 offset:2880
	s_waitcnt vmcnt(3) lgkmcnt(0)
	v_mul_f64 v[4:5], v[78:79], v[102:103]
	s_delay_alu instid0(VALU_DEP_1) | instskip(SKIP_1) | instid1(VALU_DEP_1)
	v_fma_f64 v[128:129], v[76:77], v[100:101], -v[4:5]
	v_mul_f64 v[4:5], v[76:77], v[102:103]
	v_fma_f64 v[130:131], v[78:79], v[100:101], v[4:5]
	ds_load_b128 v[76:79], v253 offset:4320
	;; [unrolled: 7-line block ×3, first 2 shown]
	s_waitcnt vmcnt(1) lgkmcnt(0)
	v_mul_f64 v[4:5], v[78:79], v[90:91]
	s_delay_alu instid0(VALU_DEP_1) | instskip(SKIP_1) | instid1(VALU_DEP_2)
	v_fma_f64 v[136:137], v[76:77], v[88:89], -v[4:5]
	v_mul_f64 v[4:5], v[76:77], v[90:91]
	v_add_f64 v[177:178], v[124:125], -v[136:137]
	s_delay_alu instid0(VALU_DEP_2) | instskip(SKIP_3) | instid1(VALU_DEP_1)
	v_fma_f64 v[138:139], v[78:79], v[88:89], v[4:5]
	global_load_b128 v[76:79], v2, s[2:3] offset:16
	s_waitcnt vmcnt(0)
	v_mul_f64 v[4:5], v[82:83], v[78:79]
	v_fma_f64 v[108:109], v[80:81], v[76:77], -v[4:5]
	v_mul_f64 v[4:5], v[80:81], v[78:79]
	s_delay_alu instid0(VALU_DEP_1) | instskip(SKIP_3) | instid1(VALU_DEP_1)
	v_fma_f64 v[110:111], v[82:83], v[76:77], v[4:5]
	global_load_b128 v[80:83], v2, s[2:3] offset:32
	s_waitcnt vmcnt(0)
	v_mul_f64 v[4:5], v[86:87], v[82:83]
	v_fma_f64 v[114:115], v[84:85], v[80:81], -v[4:5]
	v_mul_f64 v[4:5], v[84:85], v[82:83]
	s_delay_alu instid0(VALU_DEP_1) | instskip(SKIP_3) | instid1(VALU_DEP_1)
	v_fma_f64 v[112:113], v[86:87], v[80:81], v[4:5]
	ds_load_b128 v[84:87], v253 offset:2400
	s_waitcnt lgkmcnt(0)
	v_mul_f64 v[4:5], v[86:87], v[94:95]
	v_fma_f64 v[122:123], v[84:85], v[92:93], -v[4:5]
	v_mul_f64 v[4:5], v[84:85], v[94:95]
	s_delay_alu instid0(VALU_DEP_1) | instskip(SKIP_2) | instid1(VALU_DEP_1)
	v_fma_f64 v[116:117], v[86:87], v[92:93], v[4:5]
	global_load_b128 v[84:87], v2, s[2:3] offset:48
	v_mad_u16 v2, v3, 50, v157
	v_and_b32_e32 v2, 0xff, v2
	s_delay_alu instid0(VALU_DEP_1) | instskip(SKIP_2) | instid1(VALU_DEP_1)
	v_lshl_add_u32 v2, v2, 4, v28
	s_waitcnt vmcnt(0)
	v_mul_f64 v[4:5], v[162:163], v[86:87]
	v_fma_f64 v[118:119], v[160:161], v[84:85], -v[4:5]
	v_mul_f64 v[4:5], v[160:161], v[86:87]
	s_delay_alu instid0(VALU_DEP_2) | instskip(NEXT) | instid1(VALU_DEP_2)
	v_add_f64 v[181:182], v[122:123], -v[118:119]
	v_fma_f64 v[120:121], v[162:163], v[84:85], v[4:5]
	v_add_f64 v[4:5], v[142:143], -v[148:149]
	ds_load_b128 v[160:163], v253 offset:480
	s_waitcnt lgkmcnt(0)
	v_fma_f64 v[10:11], v[10:11], -0.5, v[162:163]
	v_add_f64 v[4:5], v[4:5], v[6:7]
	v_add_f64 v[6:7], v[140:141], -v[150:151]
	s_delay_alu instid0(VALU_DEP_3) | instskip(SKIP_1) | instid1(VALU_DEP_3)
	v_fma_f64 v[165:166], v[18:19], s[18:19], v[10:11]
	v_fma_f64 v[10:11], v[18:19], s[0:1], v[10:11]
	v_add_f64 v[6:7], v[6:7], v[8:9]
	v_add_f64 v[8:9], v[148:149], v[154:155]
	s_delay_alu instid0(VALU_DEP_4) | instskip(NEXT) | instid1(VALU_DEP_4)
	v_fma_f64 v[167:168], v[173:174], s[16:17], v[165:166]
	v_fma_f64 v[10:11], v[173:174], s[14:15], v[10:11]
	s_delay_alu instid0(VALU_DEP_3) | instskip(NEXT) | instid1(VALU_DEP_3)
	v_fma_f64 v[8:9], v[8:9], -0.5, v[160:161]
	v_fma_f64 v[167:168], v[6:7], s[8:9], v[167:168]
	s_delay_alu instid0(VALU_DEP_3) | instskip(SKIP_4) | instid1(VALU_DEP_4)
	v_fma_f64 v[171:172], v[6:7], s[8:9], v[10:11]
	v_add_f64 v[10:11], v[162:163], v[140:141]
	v_add_f64 v[6:7], v[140:141], v[144:145]
	v_fma_f64 v[16:17], v[12:13], s[0:1], v[8:9]
	v_fma_f64 v[8:9], v[12:13], s[18:19], v[8:9]
	v_add_f64 v[10:11], v[10:11], v[150:151]
	s_delay_alu instid0(VALU_DEP_4) | instskip(NEXT) | instid1(VALU_DEP_4)
	v_fma_f64 v[6:7], v[6:7], -0.5, v[162:163]
	v_fma_f64 v[16:17], v[14:15], s[14:15], v[16:17]
	s_delay_alu instid0(VALU_DEP_4) | instskip(NEXT) | instid1(VALU_DEP_4)
	v_fma_f64 v[8:9], v[14:15], s[16:17], v[8:9]
	v_add_f64 v[10:11], v[10:11], v[152:153]
	s_delay_alu instid0(VALU_DEP_3) | instskip(NEXT) | instid1(VALU_DEP_3)
	v_fma_f64 v[165:166], v[4:5], s[8:9], v[16:17]
	v_fma_f64 v[169:170], v[4:5], s[8:9], v[8:9]
	v_add_f64 v[8:9], v[160:161], v[142:143]
	v_add_f64 v[4:5], v[142:143], v[146:147]
	v_add_f64 v[16:17], v[148:149], -v[142:143]
	v_add_f64 v[142:143], v[10:11], v[144:145]
	s_delay_alu instid0(VALU_DEP_4) | instskip(NEXT) | instid1(VALU_DEP_4)
	v_add_f64 v[8:9], v[8:9], v[148:149]
	v_fma_f64 v[4:5], v[4:5], -0.5, v[160:161]
	v_add_f64 v[148:149], v[150:151], -v[140:141]
	v_add_f64 v[150:151], v[154:155], -v[146:147]
	s_delay_alu instid0(VALU_DEP_4) | instskip(NEXT) | instid1(VALU_DEP_4)
	v_add_f64 v[8:9], v[8:9], v[154:155]
	v_fma_f64 v[10:11], v[14:15], s[18:19], v[4:5]
	v_fma_f64 v[4:5], v[14:15], s[0:1], v[4:5]
	;; [unrolled: 1-line block ×4, first 2 shown]
	v_add_f64 v[16:17], v[16:17], v[150:151]
	v_add_f64 v[140:141], v[8:9], v[146:147]
	v_add_f64 v[8:9], v[152:153], -v[144:145]
	v_fma_f64 v[4:5], v[12:13], s[16:17], v[4:5]
	v_fma_f64 v[10:11], v[12:13], s[14:15], v[10:11]
	;; [unrolled: 1-line block ×4, first 2 shown]
	ds_load_b128 v[152:155], v253
	v_add_f64 v[18:19], v[128:129], -v[134:135]
	v_add_f64 v[14:15], v[126:127], -v[138:139]
	v_add_f64 v[8:9], v[148:149], v[8:9]
	v_fma_f64 v[148:149], v[16:17], s[8:9], v[4:5]
	v_add_f64 v[4:5], v[128:129], -v[124:125]
	v_fma_f64 v[144:145], v[16:17], s[8:9], v[10:11]
	v_add_f64 v[10:11], v[126:127], v[138:139]
	v_fma_f64 v[150:151], v[8:9], s[8:9], v[6:7]
	v_add_f64 v[6:7], v[134:135], -v[136:137]
	v_fma_f64 v[146:147], v[8:9], s[8:9], v[12:13]
	v_add_f64 v[8:9], v[132:133], -v[138:139]
	s_waitcnt lgkmcnt(0)
	v_fma_f64 v[10:11], v[10:11], -0.5, v[154:155]
	v_add_f64 v[12:13], v[130:131], -v[132:133]
	v_add_f64 v[4:5], v[4:5], v[6:7]
	v_add_f64 v[6:7], v[130:131], -v[126:127]
	s_delay_alu instid0(VALU_DEP_4) | instskip(SKIP_1) | instid1(VALU_DEP_3)
	v_fma_f64 v[160:161], v[18:19], s[0:1], v[10:11]
	v_fma_f64 v[10:11], v[18:19], s[18:19], v[10:11]
	v_add_f64 v[6:7], v[6:7], v[8:9]
	v_add_f64 v[8:9], v[124:125], v[136:137]
	s_delay_alu instid0(VALU_DEP_4) | instskip(NEXT) | instid1(VALU_DEP_4)
	v_fma_f64 v[162:163], v[177:178], s[16:17], v[160:161]
	v_fma_f64 v[10:11], v[177:178], s[14:15], v[10:11]
	s_delay_alu instid0(VALU_DEP_3) | instskip(NEXT) | instid1(VALU_DEP_3)
	v_fma_f64 v[8:9], v[8:9], -0.5, v[152:153]
	v_fma_f64 v[162:163], v[6:7], s[8:9], v[162:163]
	s_delay_alu instid0(VALU_DEP_3) | instskip(SKIP_4) | instid1(VALU_DEP_4)
	v_fma_f64 v[175:176], v[6:7], s[8:9], v[10:11]
	v_add_f64 v[10:11], v[154:155], v[126:127]
	v_add_f64 v[6:7], v[130:131], v[132:133]
	v_fma_f64 v[16:17], v[12:13], s[18:19], v[8:9]
	v_fma_f64 v[8:9], v[12:13], s[0:1], v[8:9]
	v_add_f64 v[10:11], v[10:11], v[130:131]
	s_delay_alu instid0(VALU_DEP_4) | instskip(NEXT) | instid1(VALU_DEP_4)
	v_fma_f64 v[6:7], v[6:7], -0.5, v[154:155]
	v_fma_f64 v[16:17], v[14:15], s[14:15], v[16:17]
	s_delay_alu instid0(VALU_DEP_4) | instskip(NEXT) | instid1(VALU_DEP_4)
	v_fma_f64 v[8:9], v[14:15], s[16:17], v[8:9]
	v_add_f64 v[10:11], v[10:11], v[132:133]
	s_delay_alu instid0(VALU_DEP_3) | instskip(NEXT) | instid1(VALU_DEP_3)
	v_fma_f64 v[160:161], v[4:5], s[8:9], v[16:17]
	v_fma_f64 v[173:174], v[4:5], s[8:9], v[8:9]
	v_add_f64 v[8:9], v[152:153], v[124:125]
	v_add_f64 v[4:5], v[128:129], v[134:135]
	v_add_f64 v[16:17], v[124:125], -v[128:129]
	s_delay_alu instid0(VALU_DEP_3) | instskip(NEXT) | instid1(VALU_DEP_3)
	v_add_f64 v[8:9], v[8:9], v[128:129]
	v_fma_f64 v[4:5], v[4:5], -0.5, v[152:153]
	v_add_f64 v[128:129], v[126:127], -v[130:131]
	v_add_f64 v[130:131], v[136:137], -v[134:135]
	v_add_f64 v[126:127], v[10:11], v[138:139]
	v_add_f64 v[8:9], v[8:9], v[134:135]
	v_fma_f64 v[10:11], v[14:15], s[0:1], v[4:5]
	v_fma_f64 v[4:5], v[14:15], s[18:19], v[4:5]
	;; [unrolled: 1-line block ×4, first 2 shown]
	v_add_f64 v[16:17], v[16:17], v[130:131]
	v_add_f64 v[124:125], v[8:9], v[136:137]
	v_add_f64 v[8:9], v[138:139], -v[132:133]
	v_fma_f64 v[4:5], v[12:13], s[16:17], v[4:5]
	v_fma_f64 v[10:11], v[12:13], s[14:15], v[10:11]
	v_fma_f64 v[6:7], v[18:19], s[14:15], v[6:7]
	v_fma_f64 v[12:13], v[18:19], s[16:17], v[14:15]
	ds_load_b128 v[136:139], v253 offset:960
	v_add_f64 v[18:19], v[108:109], -v[114:115]
	v_add_f64 v[14:15], v[116:117], -v[120:121]
	s_waitcnt lgkmcnt(0)
	s_waitcnt_vscnt null, 0x0
	s_barrier
	buffer_gl0_inv
	v_add_f64 v[8:9], v[128:129], v[8:9]
	v_fma_f64 v[132:133], v[16:17], s[8:9], v[4:5]
	v_add_f64 v[4:5], v[108:109], -v[122:123]
	v_fma_f64 v[128:129], v[16:17], s[8:9], v[10:11]
	v_add_f64 v[10:11], v[116:117], v[120:121]
	v_fma_f64 v[134:135], v[8:9], s[8:9], v[6:7]
	v_add_f64 v[6:7], v[114:115], -v[118:119]
	v_fma_f64 v[130:131], v[8:9], s[8:9], v[12:13]
	v_add_f64 v[8:9], v[112:113], -v[120:121]
	v_fma_f64 v[10:11], v[10:11], -0.5, v[138:139]
	v_add_f64 v[12:13], v[110:111], -v[112:113]
	ds_store_b128 v2, v[124:127]
	ds_store_b128 v2, v[128:131] offset:160
	ds_store_b128 v2, v[160:163] offset:320
	;; [unrolled: 1-line block ×3, first 2 shown]
	v_add_f64 v[4:5], v[4:5], v[6:7]
	v_add_f64 v[6:7], v[110:111], -v[116:117]
	v_fma_f64 v[152:153], v[18:19], s[0:1], v[10:11]
	v_fma_f64 v[10:11], v[18:19], s[18:19], v[10:11]
	scratch_store_b32 off, v2, off offset:244 ; 4-byte Folded Spill
	ds_store_b128 v2, v[132:135] offset:640
	ds_store_b128 v254, v[140:143]
	ds_store_b128 v254, v[165:168] offset:160
	ds_store_b128 v254, v[144:147] offset:320
	;; [unrolled: 1-line block ×4, first 2 shown]
	v_add_co_u32 v172, null, 0x5a, v22
	v_add_f64 v[6:7], v[6:7], v[8:9]
	v_add_f64 v[8:9], v[122:123], v[118:119]
	v_fma_f64 v[10:11], v[181:182], s[14:15], v[10:11]
	v_fma_f64 v[154:155], v[181:182], s[16:17], v[152:153]
	s_delay_alu instid0(VALU_DEP_3) | instskip(NEXT) | instid1(VALU_DEP_3)
	v_fma_f64 v[8:9], v[8:9], -0.5, v[136:137]
	v_fma_f64 v[179:180], v[6:7], s[8:9], v[10:11]
	v_add_f64 v[10:11], v[138:139], v[116:117]
	s_delay_alu instid0(VALU_DEP_4)
	v_fma_f64 v[154:155], v[6:7], s[8:9], v[154:155]
	v_add_f64 v[6:7], v[110:111], v[112:113]
	v_add_f64 v[116:117], v[116:117], -v[110:111]
	v_fma_f64 v[16:17], v[12:13], s[18:19], v[8:9]
	v_fma_f64 v[8:9], v[12:13], s[0:1], v[8:9]
	v_add_f64 v[10:11], v[10:11], v[110:111]
	v_fma_f64 v[6:7], v[6:7], -0.5, v[138:139]
	s_delay_alu instid0(VALU_DEP_4) | instskip(NEXT) | instid1(VALU_DEP_4)
	v_fma_f64 v[16:17], v[14:15], s[14:15], v[16:17]
	v_fma_f64 v[8:9], v[14:15], s[16:17], v[8:9]
	s_delay_alu instid0(VALU_DEP_4) | instskip(NEXT) | instid1(VALU_DEP_3)
	v_add_f64 v[10:11], v[10:11], v[112:113]
	v_fma_f64 v[152:153], v[4:5], s[8:9], v[16:17]
	s_delay_alu instid0(VALU_DEP_3) | instskip(SKIP_4) | instid1(VALU_DEP_4)
	v_fma_f64 v[177:178], v[4:5], s[8:9], v[8:9]
	v_add_f64 v[8:9], v[136:137], v[122:123]
	v_add_f64 v[4:5], v[108:109], v[114:115]
	v_add_f64 v[16:17], v[122:123], -v[108:109]
	v_add_f64 v[110:111], v[10:11], v[120:121]
	v_add_f64 v[8:9], v[8:9], v[108:109]
	s_delay_alu instid0(VALU_DEP_4) | instskip(NEXT) | instid1(VALU_DEP_2)
	v_fma_f64 v[4:5], v[4:5], -0.5, v[136:137]
	v_add_f64 v[8:9], v[8:9], v[114:115]
	v_add_f64 v[114:115], v[118:119], -v[114:115]
	s_delay_alu instid0(VALU_DEP_3)
	v_fma_f64 v[10:11], v[14:15], s[0:1], v[4:5]
	v_fma_f64 v[4:5], v[14:15], s[18:19], v[4:5]
	;; [unrolled: 1-line block ×4, first 2 shown]
	v_cmp_gt_u16_e64 s0, 20, v22
	v_add_f64 v[108:109], v[8:9], v[118:119]
	v_add_f64 v[8:9], v[120:121], -v[112:113]
	v_add_f64 v[16:17], v[16:17], v[114:115]
	v_fma_f64 v[10:11], v[12:13], s[14:15], v[10:11]
	v_fma_f64 v[4:5], v[12:13], s[16:17], v[4:5]
	;; [unrolled: 1-line block ×4, first 2 shown]
	s_mov_b32 s15, 0xbfebb67a
	v_add_f64 v[8:9], v[116:117], v[8:9]
	v_fma_f64 v[112:113], v[16:17], s[8:9], v[10:11]
	v_fma_f64 v[116:117], v[16:17], s[8:9], v[4:5]
	s_delay_alu instid0(VALU_DEP_3)
	v_fma_f64 v[114:115], v[8:9], s[8:9], v[12:13]
	v_fma_f64 v[118:119], v[8:9], s[8:9], v[6:7]
	ds_store_b128 v0, v[108:111]
	ds_store_b128 v0, v[112:115] offset:160
	ds_store_b128 v0, v[152:155] offset:320
	;; [unrolled: 1-line block ×3, first 2 shown]
	v_lshlrev_b32_e32 v152, 5, v22
	scratch_store_b32 off, v0, off offset:236 ; 4-byte Folded Spill
	ds_store_b128 v0, v[116:119] offset:640
	s_waitcnt lgkmcnt(0)
	s_waitcnt_vscnt null, 0x0
	s_barrier
	buffer_gl0_inv
	global_load_b128 v[108:111], v152, s[2:3] offset:640
	ds_load_b128 v[112:115], v253 offset:2400
	ds_load_b128 v[217:220], v253 offset:1920
	;; [unrolled: 1-line block ×4, first 2 shown]
	v_add_co_u32 v0, s1, 0xffffffec, v22
	s_delay_alu instid0(VALU_DEP_1)
	v_add_co_ci_u32_e64 v1, null, 0, -1, s1
	ds_load_b128 v[120:123], v253 offset:2880
	ds_load_b128 v[128:131], v253 offset:3360
	v_cndmask_b32_e64 v148, v0, v156, s0
	v_cndmask_b32_e64 v149, v1, v20, s0
	v_and_b32_e32 v0, 0xff, v172
	v_add_co_u32 v180, null, 0x78, v22
	s_mov_b32 s8, 0xe8584caa
	s_delay_alu instid0(VALU_DEP_3) | instskip(NEXT) | instid1(VALU_DEP_3)
	v_lshlrev_b64 v[12:13], 5, v[148:149]
	v_mul_lo_u16 v0, v0, 41
	s_mov_b32 s9, 0x3febb67a
	s_mov_b32 s14, s8
	ds_load_b128 v[193:196], v253 offset:960
	ds_load_b128 v[205:208], v253 offset:1440
	v_add_co_u32 v12, s0, s2, v12
	s_delay_alu instid0(VALU_DEP_1)
	v_add_co_ci_u32_e64 v13, s0, s3, v13, s0
	v_lshrrev_b16 v149, 11, v0
	v_cmp_lt_u16_e64 s0, 19, v22
	v_mov_b32_e32 v1, v22
	ds_load_b128 v[181:184], v253 offset:480
	v_mul_lo_u16 v0, v149, 50
	v_lshl_add_u32 v252, v1, 4, v28
	s_delay_alu instid0(VALU_DEP_2) | instskip(NEXT) | instid1(VALU_DEP_1)
	v_sub_nc_u16 v0, v172, v0
	v_and_b32_e32 v150, 0xff, v0
	s_delay_alu instid0(VALU_DEP_1) | instskip(SKIP_3) | instid1(VALU_DEP_2)
	v_lshlrev_b32_e32 v0, 5, v150
	s_waitcnt vmcnt(0) lgkmcnt(8)
	v_mul_f64 v[4:5], v[114:115], v[110:111]
	v_mul_f64 v[6:7], v[112:113], v[110:111]
	v_fma_f64 v[4:5], v[112:113], v[108:109], -v[4:5]
	s_delay_alu instid0(VALU_DEP_2) | instskip(SKIP_4) | instid1(VALU_DEP_2)
	v_fma_f64 v[6:7], v[114:115], v[108:109], v[6:7]
	global_load_b128 v[112:115], v152, s[2:3] offset:656
	s_waitcnt vmcnt(0) lgkmcnt(6)
	v_mul_f64 v[8:9], v[118:119], v[114:115]
	v_mul_f64 v[10:11], v[116:117], v[114:115]
	v_fma_f64 v[8:9], v[116:117], v[112:113], -v[8:9]
	s_delay_alu instid0(VALU_DEP_2) | instskip(SKIP_4) | instid1(VALU_DEP_2)
	v_fma_f64 v[10:11], v[118:119], v[112:113], v[10:11]
	global_load_b128 v[116:119], v[12:13], off offset:640
	s_waitcnt vmcnt(0) lgkmcnt(4)
	v_mul_f64 v[14:15], v[122:123], v[118:119]
	v_mul_f64 v[16:17], v[120:121], v[118:119]
	v_fma_f64 v[14:15], v[120:121], v[116:117], -v[14:15]
	s_delay_alu instid0(VALU_DEP_2) | instskip(SKIP_4) | instid1(VALU_DEP_2)
	v_fma_f64 v[16:17], v[122:123], v[116:117], v[16:17]
	global_load_b128 v[120:123], v[12:13], off offset:656
	s_waitcnt vmcnt(0)
	v_mul_f64 v[12:13], v[126:127], v[122:123]
	v_mul_f64 v[18:19], v[124:125], v[122:123]
	v_fma_f64 v[12:13], v[124:125], v[120:121], -v[12:13]
	s_delay_alu instid0(VALU_DEP_2) | instskip(SKIP_3) | instid1(VALU_DEP_1)
	v_fma_f64 v[18:19], v[126:127], v[120:121], v[18:19]
	global_load_b128 v[124:127], v152, s[2:3] offset:960
	s_waitcnt vmcnt(0) lgkmcnt(3)
	v_mul_f64 v[132:133], v[130:131], v[126:127]
	v_fma_f64 v[153:154], v[128:129], v[124:125], -v[132:133]
	v_mul_f64 v[128:129], v[128:129], v[126:127]
	ds_load_b128 v[132:135], v253 offset:5760
	v_fma_f64 v[161:162], v[130:131], v[124:125], v[128:129]
	global_load_b128 v[128:131], v152, s[2:3] offset:976
	s_waitcnt vmcnt(0) lgkmcnt(0)
	v_mul_f64 v[136:137], v[134:135], v[130:131]
	s_delay_alu instid0(VALU_DEP_1)
	v_fma_f64 v[169:170], v[132:133], v[128:129], -v[136:137]
	v_mul_f64 v[132:133], v[132:133], v[130:131]
	ds_load_b128 v[136:139], v253 offset:3840
	v_fma_f64 v[177:178], v[134:135], v[128:129], v[132:133]
	global_load_b128 v[132:135], v0, s[2:3] offset:640
	s_waitcnt vmcnt(0) lgkmcnt(0)
	v_mul_f64 v[140:141], v[138:139], v[134:135]
	s_delay_alu instid0(VALU_DEP_1)
	v_fma_f64 v[209:210], v[136:137], v[132:133], -v[140:141]
	v_mul_f64 v[136:137], v[136:137], v[134:135]
	ds_load_b128 v[140:143], v253 offset:6240
	v_fma_f64 v[211:212], v[138:139], v[132:133], v[136:137]
	global_load_b128 v[136:139], v0, s[2:3] offset:656
	v_and_b32_e32 v0, 0xff, v180
	s_delay_alu instid0(VALU_DEP_1) | instskip(NEXT) | instid1(VALU_DEP_1)
	v_mul_lo_u16 v0, v0, 41
	v_lshrrev_b16 v0, 11, v0
	s_delay_alu instid0(VALU_DEP_1) | instskip(NEXT) | instid1(VALU_DEP_1)
	v_mul_lo_u16 v0, v0, 50
	v_sub_nc_u16 v0, v180, v0
	s_delay_alu instid0(VALU_DEP_1) | instskip(NEXT) | instid1(VALU_DEP_1)
	v_and_b32_e32 v151, 0xff, v0
	v_lshlrev_b32_e32 v0, 5, v151
	s_waitcnt vmcnt(0) lgkmcnt(0)
	v_mul_f64 v[144:145], v[142:143], v[138:139]
	s_delay_alu instid0(VALU_DEP_1)
	v_fma_f64 v[213:214], v[140:141], v[136:137], -v[144:145]
	v_mul_f64 v[140:141], v[140:141], v[138:139]
	ds_load_b128 v[144:147], v253 offset:4320
	v_fma_f64 v[215:216], v[142:143], v[136:137], v[140:141]
	global_load_b128 v[140:143], v0, s[2:3] offset:640
	s_waitcnt vmcnt(0) lgkmcnt(0)
	v_mul_f64 v[157:158], v[146:147], v[142:143]
	s_delay_alu instid0(VALU_DEP_1)
	v_fma_f64 v[221:222], v[144:145], v[140:141], -v[157:158]
	v_mul_f64 v[144:145], v[144:145], v[142:143]
	ds_load_b128 v[157:160], v253 offset:6720
	v_fma_f64 v[223:224], v[146:147], v[140:141], v[144:145]
	global_load_b128 v[144:147], v0, s[2:3] offset:656
	v_cndmask_b32_e64 v0, 0, 0x96, s0
	s_delay_alu instid0(VALU_DEP_1) | instskip(NEXT) | instid1(VALU_DEP_1)
	v_add_nc_u32_e32 v0, v148, v0
	v_lshl_add_u32 v0, v0, 4, v28
	s_waitcnt vmcnt(0) lgkmcnt(0)
	v_mul_f64 v[165:166], v[159:160], v[146:147]
	s_delay_alu instid0(VALU_DEP_1) | instskip(SKIP_2) | instid1(VALU_DEP_2)
	v_fma_f64 v[225:226], v[157:158], v[144:145], -v[165:166]
	v_mul_f64 v[157:158], v[157:158], v[146:147]
	v_add_f64 v[165:166], v[4:5], v[8:9]
	v_fma_f64 v[227:228], v[159:160], v[144:145], v[157:158]
	ds_load_b128 v[157:160], v253
	s_waitcnt lgkmcnt(0)
	s_barrier
	buffer_gl0_inv
	v_fma_f64 v[167:168], v[165:166], -0.5, v[157:158]
	v_add_f64 v[165:166], v[6:7], v[10:11]
	v_add_f64 v[157:158], v[157:158], v[4:5]
	v_add_f64 v[4:5], v[4:5], -v[8:9]
	s_delay_alu instid0(VALU_DEP_3) | instskip(SKIP_4) | instid1(VALU_DEP_4)
	v_fma_f64 v[175:176], v[165:166], -0.5, v[159:160]
	v_add_f64 v[159:160], v[159:160], v[6:7]
	v_add_f64 v[6:7], v[6:7], -v[10:11]
	v_add_f64 v[157:158], v[157:158], v[8:9]
	v_add_f64 v[8:9], v[183:184], v[16:17]
	;; [unrolled: 1-line block ×3, first 2 shown]
	s_delay_alu instid0(VALU_DEP_4)
	v_fma_f64 v[165:166], v[6:7], s[8:9], v[167:168]
	v_fma_f64 v[173:174], v[6:7], s[14:15], v[167:168]
	v_fma_f64 v[167:168], v[4:5], s[14:15], v[175:176]
	v_fma_f64 v[175:176], v[4:5], s[8:9], v[175:176]
	v_add_f64 v[4:5], v[14:15], v[12:13]
	v_add_f64 v[6:7], v[16:17], v[18:19]
	v_add_f64 v[16:17], v[16:17], -v[18:19]
	v_add_f64 v[10:11], v[181:182], v[14:15]
	ds_store_b128 v253, v[157:160]
	ds_store_b128 v253, v[165:168] offset:800
	ds_store_b128 v253, v[173:176] offset:1600
	v_fma_f64 v[4:5], v[4:5], -0.5, v[181:182]
	v_fma_f64 v[6:7], v[6:7], -0.5, v[183:184]
	v_add_f64 v[183:184], v[8:9], v[18:19]
	v_add_f64 v[8:9], v[14:15], -v[12:13]
	v_add_f64 v[181:182], v[10:11], v[12:13]
	v_add_f64 v[12:13], v[161:162], -v[177:178]
	v_add_f64 v[10:11], v[193:194], v[153:154]
	v_fma_f64 v[185:186], v[16:17], s[8:9], v[4:5]
	v_fma_f64 v[189:190], v[16:17], s[14:15], v[4:5]
	v_add_f64 v[4:5], v[153:154], v[169:170]
	v_fma_f64 v[187:188], v[8:9], s[14:15], v[6:7]
	v_fma_f64 v[191:192], v[8:9], s[8:9], v[6:7]
	v_add_f64 v[6:7], v[161:162], v[177:178]
	v_add_f64 v[8:9], v[195:196], v[161:162]
	ds_store_b128 v0, v[181:184]
	ds_store_b128 v0, v[185:188] offset:800
	v_fma_f64 v[4:5], v[4:5], -0.5, v[193:194]
	v_add_f64 v[193:194], v[10:11], v[169:170]
	v_fma_f64 v[6:7], v[6:7], -0.5, v[195:196]
	v_add_f64 v[195:196], v[8:9], v[177:178]
	v_add_f64 v[8:9], v[153:154], -v[169:170]
	v_add_f64 v[10:11], v[205:206], v[209:210]
	scratch_store_b32 off, v0, off offset:252 ; 4-byte Folded Spill
	v_fma_f64 v[197:198], v[12:13], s[8:9], v[4:5]
	v_fma_f64 v[201:202], v[12:13], s[14:15], v[4:5]
	v_add_f64 v[4:5], v[209:210], v[213:214]
	v_add_f64 v[12:13], v[211:212], -v[215:216]
	v_fma_f64 v[199:200], v[8:9], s[14:15], v[6:7]
	v_fma_f64 v[203:204], v[8:9], s[8:9], v[6:7]
	v_add_f64 v[6:7], v[211:212], v[215:216]
	v_add_f64 v[8:9], v[207:208], v[211:212]
	ds_store_b128 v0, v[189:192] offset:1600
	ds_store_b128 v253, v[193:196] offset:2560
	;; [unrolled: 1-line block ×4, first 2 shown]
	v_fma_f64 v[4:5], v[4:5], -0.5, v[205:206]
	v_add_f64 v[205:206], v[10:11], v[213:214]
	v_add_f64 v[10:11], v[217:218], v[221:222]
	v_fma_f64 v[6:7], v[6:7], -0.5, v[207:208]
	v_add_f64 v[207:208], v[8:9], v[215:216]
	v_add_f64 v[8:9], v[209:210], -v[213:214]
	v_and_b32_e32 v0, 0xffff, v149
	s_delay_alu instid0(VALU_DEP_1) | instskip(NEXT) | instid1(VALU_DEP_1)
	v_mul_u32_u24_e32 v0, 0x96, v0
	v_add_nc_u32_e32 v0, v0, v150
	s_delay_alu instid0(VALU_DEP_1)
	v_lshl_add_u32 v0, v0, 4, v28
	v_fma_f64 v[209:210], v[12:13], s[8:9], v[4:5]
	v_fma_f64 v[213:214], v[12:13], s[14:15], v[4:5]
	v_add_f64 v[4:5], v[221:222], v[225:226]
	v_add_f64 v[12:13], v[223:224], -v[227:228]
	v_fma_f64 v[211:212], v[8:9], s[14:15], v[6:7]
	v_fma_f64 v[215:216], v[8:9], s[8:9], v[6:7]
	v_add_f64 v[6:7], v[223:224], v[227:228]
	v_add_f64 v[8:9], v[219:220], v[223:224]
	ds_store_b128 v0, v[205:208]
	ds_store_b128 v0, v[209:212] offset:800
	v_fma_f64 v[4:5], v[4:5], -0.5, v[217:218]
	v_add_f64 v[217:218], v[10:11], v[225:226]
	v_fma_f64 v[6:7], v[6:7], -0.5, v[219:220]
	v_add_f64 v[219:220], v[8:9], v[227:228]
	v_add_f64 v[8:9], v[221:222], -v[225:226]
	scratch_store_b32 off, v0, off offset:248 ; 4-byte Folded Spill
	ds_store_b128 v0, v[213:216] offset:1600
	v_lshl_add_u32 v0, v151, 4, v28
	v_fma_f64 v[225:226], v[12:13], s[14:15], v[4:5]
	v_fma_f64 v[221:222], v[12:13], s[8:9], v[4:5]
	;; [unrolled: 1-line block ×4, first 2 shown]
	ds_store_b128 v0, v[217:220] offset:4800
	ds_store_b128 v0, v[221:224] offset:5600
	scratch_store_b32 off, v0, off offset:240 ; 4-byte Folded Spill
	ds_store_b128 v0, v[225:228] offset:6400
	s_waitcnt lgkmcnt(0)
	s_waitcnt_vscnt null, 0x0
	s_barrier
	buffer_gl0_inv
	s_clause 0x1
	global_load_b128 v[148:151], v152, s[2:3] offset:2240
	global_load_b128 v[152:155], v152, s[2:3] offset:2256
	ds_load_b128 v[157:160], v253 offset:2400
	ds_load_b128 v[165:168], v253 offset:5280
	v_lshlrev_b32_e32 v0, 5, v156
	scratch_store_b32 off, v28, off offset:256 ; 4-byte Folded Spill
	s_waitcnt vmcnt(1) lgkmcnt(1)
	v_mul_f64 v[4:5], v[159:160], v[150:151]
	v_mul_f64 v[6:7], v[157:158], v[150:151]
	s_delay_alu instid0(VALU_DEP_2) | instskip(NEXT) | instid1(VALU_DEP_2)
	v_fma_f64 v[4:5], v[157:158], v[148:149], -v[4:5]
	v_fma_f64 v[6:7], v[159:160], v[148:149], v[6:7]
	ds_load_b128 v[157:160], v253 offset:4800
	s_waitcnt vmcnt(0) lgkmcnt(0)
	v_mul_f64 v[8:9], v[159:160], v[154:155]
	v_mul_f64 v[10:11], v[157:158], v[154:155]
	s_delay_alu instid0(VALU_DEP_2) | instskip(NEXT) | instid1(VALU_DEP_2)
	v_fma_f64 v[8:9], v[157:158], v[152:153], -v[8:9]
	v_fma_f64 v[10:11], v[159:160], v[152:153], v[10:11]
	global_load_b128 v[156:159], v0, s[2:3] offset:2240
	ds_load_b128 v[160:163], v253 offset:2880
	s_waitcnt vmcnt(0) lgkmcnt(0)
	v_mul_f64 v[12:13], v[162:163], v[158:159]
	v_mul_f64 v[14:15], v[160:161], v[158:159]
	s_delay_alu instid0(VALU_DEP_2) | instskip(NEXT) | instid1(VALU_DEP_2)
	v_fma_f64 v[12:13], v[160:161], v[156:157], -v[12:13]
	v_fma_f64 v[14:15], v[162:163], v[156:157], v[14:15]
	global_load_b128 v[160:163], v0, s[2:3] offset:2256
	v_lshlrev_b32_e32 v0, 5, v164
	s_waitcnt vmcnt(0)
	v_mul_f64 v[16:17], v[167:168], v[162:163]
	v_mul_f64 v[18:19], v[165:166], v[162:163]
	s_delay_alu instid0(VALU_DEP_2) | instskip(NEXT) | instid1(VALU_DEP_2)
	v_fma_f64 v[16:17], v[165:166], v[160:161], -v[16:17]
	v_fma_f64 v[18:19], v[167:168], v[160:161], v[18:19]
	global_load_b128 v[164:167], v0, s[2:3] offset:2240
	ds_load_b128 v[168:171], v253 offset:3360
	s_waitcnt vmcnt(0) lgkmcnt(0)
	v_mul_f64 v[173:174], v[170:171], v[166:167]
	s_delay_alu instid0(VALU_DEP_1)
	v_fma_f64 v[192:193], v[168:169], v[164:165], -v[173:174]
	v_mul_f64 v[168:169], v[168:169], v[166:167]
	ds_load_b128 v[173:176], v253 offset:5760
	v_fma_f64 v[194:195], v[170:171], v[164:165], v[168:169]
	global_load_b128 v[168:171], v0, s[2:3] offset:2256
	v_lshlrev_b32_e32 v0, 5, v172
	s_waitcnt vmcnt(0) lgkmcnt(0)
	v_mul_f64 v[177:178], v[175:176], v[170:171]
	s_delay_alu instid0(VALU_DEP_1) | instskip(SKIP_1) | instid1(VALU_DEP_1)
	v_fma_f64 v[196:197], v[173:174], v[168:169], -v[177:178]
	v_mul_f64 v[173:174], v[173:174], v[170:171]
	v_fma_f64 v[198:199], v[175:176], v[168:169], v[173:174]
	global_load_b128 v[172:175], v0, s[2:3] offset:2240
	ds_load_b128 v[176:179], v253 offset:3840
	s_waitcnt vmcnt(0) lgkmcnt(0)
	v_mul_f64 v[181:182], v[178:179], v[174:175]
	s_delay_alu instid0(VALU_DEP_1)
	v_fma_f64 v[200:201], v[176:177], v[172:173], -v[181:182]
	v_mul_f64 v[176:177], v[176:177], v[174:175]
	ds_load_b128 v[181:184], v253 offset:6240
	v_fma_f64 v[202:203], v[178:179], v[172:173], v[176:177]
	global_load_b128 v[176:179], v0, s[2:3] offset:2256
	v_lshlrev_b32_e32 v0, 5, v180
	s_waitcnt vmcnt(0) lgkmcnt(0)
	v_mul_f64 v[185:186], v[183:184], v[178:179]
	s_delay_alu instid0(VALU_DEP_1) | instskip(SKIP_1) | instid1(VALU_DEP_1)
	v_fma_f64 v[204:205], v[181:182], v[176:177], -v[185:186]
	v_mul_f64 v[181:182], v[181:182], v[178:179]
	v_fma_f64 v[206:207], v[183:184], v[176:177], v[181:182]
	global_load_b128 v[180:183], v0, s[2:3] offset:2240
	ds_load_b128 v[184:187], v253 offset:4320
	s_waitcnt vmcnt(0) lgkmcnt(0)
	v_mul_f64 v[188:189], v[186:187], v[182:183]
	v_mul_f64 v[22:23], v[184:185], v[182:183]
	s_delay_alu instid0(VALU_DEP_2) | instskip(NEXT) | instid1(VALU_DEP_2)
	v_fma_f64 v[20:21], v[184:185], v[180:181], -v[188:189]
	v_fma_f64 v[22:23], v[186:187], v[180:181], v[22:23]
	global_load_b128 v[184:187], v0, s[2:3] offset:2256
	ds_load_b128 v[188:191], v253 offset:6720
	v_lshlrev_b32_e32 v0, 4, v1
	s_delay_alu instid0(VALU_DEP_1) | instskip(SKIP_3) | instid1(VALU_DEP_2)
	v_add_co_u32 v0, s0, s12, v0
	s_waitcnt vmcnt(0) lgkmcnt(0)
	v_mul_f64 v[208:209], v[190:191], v[186:187]
	v_mul_f64 v[26:27], v[188:189], v[186:187]
	v_fma_f64 v[24:25], v[188:189], v[184:185], -v[208:209]
	v_add_f64 v[208:209], v[4:5], v[8:9]
	s_delay_alu instid0(VALU_DEP_3)
	v_fma_f64 v[26:27], v[190:191], v[184:185], v[26:27]
	ds_load_b128 v[188:191], v253
	s_waitcnt lgkmcnt(0)
	v_fma_f64 v[214:215], v[208:209], -0.5, v[188:189]
	v_add_f64 v[208:209], v[6:7], v[10:11]
	v_add_f64 v[188:189], v[188:189], v[4:5]
	v_add_f64 v[4:5], v[4:5], -v[8:9]
	s_delay_alu instid0(VALU_DEP_3) | instskip(SKIP_3) | instid1(VALU_DEP_3)
	v_fma_f64 v[218:219], v[208:209], -0.5, v[190:191]
	v_add_f64 v[190:191], v[190:191], v[6:7]
	v_add_f64 v[6:7], v[6:7], -v[10:11]
	v_add_f64 v[208:209], v[188:189], v[8:9]
	v_add_f64 v[210:211], v[190:191], v[10:11]
	ds_load_b128 v[188:191], v253 offset:480
	v_fma_f64 v[212:213], v[6:7], s[8:9], v[214:215]
	v_fma_f64 v[216:217], v[6:7], s[14:15], v[214:215]
	;; [unrolled: 1-line block ×4, first 2 shown]
	v_add_f64 v[4:5], v[12:13], v[16:17]
	v_add_f64 v[6:7], v[14:15], v[18:19]
	s_waitcnt lgkmcnt(0)
	v_add_f64 v[8:9], v[190:191], v[14:15]
	v_add_f64 v[14:15], v[14:15], -v[18:19]
	v_add_f64 v[10:11], v[188:189], v[12:13]
	v_fma_f64 v[4:5], v[4:5], -0.5, v[188:189]
	v_fma_f64 v[6:7], v[6:7], -0.5, v[190:191]
	ds_load_b128 v[188:191], v253 offset:960
	v_add_f64 v[222:223], v[8:9], v[18:19]
	v_add_f64 v[8:9], v[12:13], -v[16:17]
	v_add_f64 v[220:221], v[10:11], v[16:17]
	v_add_f64 v[12:13], v[194:195], -v[198:199]
	s_waitcnt lgkmcnt(0)
	v_add_f64 v[10:11], v[188:189], v[192:193]
	v_fma_f64 v[224:225], v[14:15], s[8:9], v[4:5]
	v_fma_f64 v[228:229], v[14:15], s[14:15], v[4:5]
	v_add_f64 v[4:5], v[192:193], v[196:197]
	v_fma_f64 v[226:227], v[8:9], s[14:15], v[6:7]
	v_fma_f64 v[230:231], v[8:9], s[8:9], v[6:7]
	v_add_f64 v[6:7], v[194:195], v[198:199]
	v_add_f64 v[8:9], v[190:191], v[194:195]
	;; [unrolled: 1-line block ×3, first 2 shown]
	v_fma_f64 v[4:5], v[4:5], -0.5, v[188:189]
	s_delay_alu instid0(VALU_DEP_4) | instskip(NEXT) | instid1(VALU_DEP_4)
	v_fma_f64 v[6:7], v[6:7], -0.5, v[190:191]
	v_add_f64 v[234:235], v[8:9], v[198:199]
	v_add_f64 v[8:9], v[192:193], -v[196:197]
	ds_load_b128 v[188:191], v253 offset:1440
	ds_load_b128 v[196:199], v253 offset:1920
	v_fma_f64 v[236:237], v[12:13], s[8:9], v[4:5]
	v_fma_f64 v[240:241], v[12:13], s[14:15], v[4:5]
	v_add_f64 v[4:5], v[200:201], v[204:205]
	v_add_f64 v[12:13], v[202:203], -v[206:207]
	s_waitcnt lgkmcnt(1)
	v_add_f64 v[10:11], v[188:189], v[200:201]
	v_fma_f64 v[238:239], v[8:9], s[14:15], v[6:7]
	v_fma_f64 v[242:243], v[8:9], s[8:9], v[6:7]
	v_add_f64 v[6:7], v[202:203], v[206:207]
	v_add_f64 v[8:9], v[190:191], v[202:203]
	v_fma_f64 v[4:5], v[4:5], -0.5, v[188:189]
	v_add_f64 v[244:245], v[10:11], v[204:205]
	s_waitcnt lgkmcnt(0)
	v_add_f64 v[10:11], v[196:197], v[20:21]
	v_fma_f64 v[6:7], v[6:7], -0.5, v[190:191]
	v_add_f64 v[246:247], v[8:9], v[206:207]
	v_add_f64 v[8:9], v[200:201], -v[204:205]
	ds_store_b128 v252, v[220:223] offset:480
	ds_store_b128 v252, v[232:235] offset:960
	ds_store_b128 v253, v[208:211]
	ds_store_b128 v252, v[212:215] offset:2400
	ds_store_b128 v252, v[224:227] offset:2880
	;; [unrolled: 1-line block ×7, first 2 shown]
	v_fma_f64 v[188:189], v[12:13], s[8:9], v[4:5]
	v_fma_f64 v[192:193], v[12:13], s[14:15], v[4:5]
	v_add_f64 v[4:5], v[20:21], v[24:25]
	v_add_f64 v[12:13], v[22:23], -v[26:27]
	v_add_f64 v[200:201], v[10:11], v[24:25]
	scratch_store_b32 off, v1, off offset:24 ; 4-byte Folded Spill
	v_add_co_ci_u32_e64 v1, null, s13, 0, s0
	v_fma_f64 v[190:191], v[8:9], s[14:15], v[6:7]
	v_fma_f64 v[194:195], v[8:9], s[8:9], v[6:7]
	v_add_f64 v[6:7], v[22:23], v[26:27]
	v_add_f64 v[8:9], v[198:199], v[22:23]
	v_fma_f64 v[4:5], v[4:5], -0.5, v[196:197]
	s_delay_alu instid0(VALU_DEP_3) | instskip(NEXT) | instid1(VALU_DEP_3)
	v_fma_f64 v[6:7], v[6:7], -0.5, v[198:199]
	v_add_f64 v[202:203], v[8:9], v[26:27]
	v_add_f64 v[8:9], v[20:21], -v[24:25]
	s_delay_alu instid0(VALU_DEP_4) | instskip(SKIP_2) | instid1(VALU_DEP_1)
	v_fma_f64 v[196:197], v[12:13], s[8:9], v[4:5]
	v_fma_f64 v[204:205], v[12:13], s[14:15], v[4:5]
	v_add_co_u32 v4, s0, 0x1000, v0
	v_add_co_ci_u32_e64 v5, s0, 0, v1, s0
	v_fma_f64 v[198:199], v[8:9], s[14:15], v[6:7]
	v_fma_f64 v[206:207], v[8:9], s[8:9], v[6:7]
	ds_store_b128 v252, v[192:195] offset:6240
	ds_store_b128 v252, v[188:191] offset:3840
	;; [unrolled: 1-line block ×5, first 2 shown]
	s_waitcnt lgkmcnt(0)
	s_waitcnt_vscnt null, 0x0
	s_barrier
	buffer_gl0_inv
	global_load_b128 v[208:211], v[4:5], off offset:3104
	ds_load_b128 v[212:215], v253
	ds_load_b128 v[218:221], v253 offset:720
	ds_load_b128 v[224:227], v253 offset:1440
	;; [unrolled: 1-line block ×5, first 2 shown]
	s_waitcnt vmcnt(0) lgkmcnt(5)
	v_mul_f64 v[4:5], v[214:215], v[210:211]
	v_mul_f64 v[6:7], v[212:213], v[210:211]
	s_delay_alu instid0(VALU_DEP_2) | instskip(NEXT) | instid1(VALU_DEP_2)
	v_fma_f64 v[210:211], v[212:213], v[208:209], -v[4:5]
	v_fma_f64 v[212:213], v[214:215], v[208:209], v[6:7]
	v_add_co_u32 v208, s0, 0x1c20, v0
	s_delay_alu instid0(VALU_DEP_1) | instskip(SKIP_1) | instid1(VALU_DEP_1)
	v_add_co_ci_u32_e64 v209, s0, 0, v1, s0
	v_add_co_u32 v8, s0, 0x2000, v0
	v_add_co_ci_u32_e64 v9, s0, 0, v1, s0
	global_load_b128 v[214:217], v[208:209], off offset:720
	v_add_co_u32 v16, s0, 0x3000, v0
	s_delay_alu instid0(VALU_DEP_1) | instskip(SKIP_3) | instid1(VALU_DEP_2)
	v_add_co_ci_u32_e64 v17, s0, 0, v1, s0
	s_waitcnt vmcnt(0) lgkmcnt(4)
	v_mul_f64 v[4:5], v[220:221], v[216:217]
	v_mul_f64 v[6:7], v[218:219], v[216:217]
	v_fma_f64 v[216:217], v[218:219], v[214:215], -v[4:5]
	s_delay_alu instid0(VALU_DEP_2) | instskip(SKIP_4) | instid1(VALU_DEP_2)
	v_fma_f64 v[218:219], v[220:221], v[214:215], v[6:7]
	global_load_b128 v[220:223], v[208:209], off offset:1440
	s_waitcnt vmcnt(0) lgkmcnt(3)
	v_mul_f64 v[4:5], v[226:227], v[222:223]
	v_mul_f64 v[6:7], v[224:225], v[222:223]
	v_fma_f64 v[222:223], v[224:225], v[220:221], -v[4:5]
	s_delay_alu instid0(VALU_DEP_2) | instskip(SKIP_4) | instid1(VALU_DEP_2)
	v_fma_f64 v[224:225], v[226:227], v[220:221], v[6:7]
	global_load_b128 v[226:229], v[208:209], off offset:2160
	s_waitcnt vmcnt(0) lgkmcnt(2)
	v_mul_f64 v[4:5], v[232:233], v[228:229]
	v_mul_f64 v[6:7], v[230:231], v[228:229]
	v_fma_f64 v[228:229], v[230:231], v[226:227], -v[4:5]
	s_delay_alu instid0(VALU_DEP_2) | instskip(SKIP_4) | instid1(VALU_DEP_2)
	v_fma_f64 v[230:231], v[232:233], v[226:227], v[6:7]
	global_load_b128 v[232:235], v[208:209], off offset:2880
	s_waitcnt vmcnt(0) lgkmcnt(1)
	v_mul_f64 v[4:5], v[238:239], v[234:235]
	v_mul_f64 v[6:7], v[236:237], v[234:235]
	v_fma_f64 v[234:235], v[236:237], v[232:233], -v[4:5]
	s_delay_alu instid0(VALU_DEP_2) | instskip(SKIP_4) | instid1(VALU_DEP_2)
	v_fma_f64 v[236:237], v[238:239], v[232:233], v[6:7]
	global_load_b128 v[238:241], v[208:209], off offset:3600
	s_waitcnt vmcnt(0) lgkmcnt(0)
	v_mul_f64 v[4:5], v[244:245], v[240:241]
	v_mul_f64 v[6:7], v[242:243], v[240:241]
	v_fma_f64 v[240:241], v[242:243], v[238:239], -v[4:5]
	s_delay_alu instid0(VALU_DEP_2)
	v_fma_f64 v[242:243], v[244:245], v[238:239], v[6:7]
	global_load_b128 v[244:247], v[8:9], off offset:3328
	ds_load_b128 v[4:7], v253 offset:4320
	s_waitcnt vmcnt(0) lgkmcnt(0)
	v_mul_f64 v[10:11], v[6:7], v[246:247]
	v_mul_f64 v[12:13], v[4:5], v[246:247]
	s_delay_alu instid0(VALU_DEP_2) | instskip(NEXT) | instid1(VALU_DEP_2)
	v_fma_f64 v[4:5], v[4:5], v[244:245], -v[10:11]
	v_fma_f64 v[6:7], v[6:7], v[244:245], v[12:13]
	global_load_b128 v[244:247], v[8:9], off offset:4048
	ds_load_b128 v[8:11], v253 offset:5040
	s_waitcnt vmcnt(0) lgkmcnt(0)
	v_mul_f64 v[12:13], v[10:11], v[246:247]
	v_mul_f64 v[14:15], v[8:9], v[246:247]
	s_delay_alu instid0(VALU_DEP_2) | instskip(NEXT) | instid1(VALU_DEP_2)
	v_fma_f64 v[8:9], v[8:9], v[244:245], -v[12:13]
	;; [unrolled: 8-line block ×4, first 2 shown]
	v_fma_f64 v[18:19], v[18:19], v[244:245], v[22:23]
	ds_store_b128 v253, v[210:213]
	ds_store_b128 v253, v[216:219] offset:720
	ds_store_b128 v253, v[222:225] offset:1440
	ds_store_b128 v253, v[228:231] offset:2160
	ds_store_b128 v253, v[234:237] offset:2880
	ds_store_b128 v253, v[240:243] offset:3600
	ds_store_b128 v253, v[4:7] offset:4320
	ds_store_b128 v253, v[8:11] offset:5040
	ds_store_b128 v253, v[12:15] offset:5760
	ds_store_b128 v253, v[16:19] offset:6480
	s_and_saveexec_b32 s1, vcc_lo
	s_cbranch_execz .LBB0_9
; %bb.8:
	s_clause 0x5
	global_load_b128 v[4:7], v[208:209], off offset:480
	global_load_b128 v[8:11], v[208:209], off offset:1200
	;; [unrolled: 1-line block ×6, first 2 shown]
	ds_load_b128 v[218:221], v252 offset:480
	ds_load_b128 v[222:225], v252 offset:4800
	v_add_co_u32 v24, s0, 0x1000, v208
	s_delay_alu instid0(VALU_DEP_1)
	v_add_co_ci_u32_e64 v25, s0, 0, v209, s0
	ds_load_b128 v[226:229], v252 offset:5520
	ds_load_b128 v[232:235], v252 offset:6240
	;; [unrolled: 1-line block ×3, first 2 shown]
	s_waitcnt vmcnt(5) lgkmcnt(4)
	v_mul_f64 v[20:21], v[220:221], v[6:7]
	v_mul_f64 v[6:7], v[218:219], v[6:7]
	s_delay_alu instid0(VALU_DEP_2) | instskip(NEXT) | instid1(VALU_DEP_2)
	v_fma_f64 v[218:219], v[218:219], v[4:5], -v[20:21]
	v_fma_f64 v[220:221], v[220:221], v[4:5], v[6:7]
	ds_load_b128 v[4:7], v252 offset:1200
	s_waitcnt vmcnt(4) lgkmcnt(0)
	v_mul_f64 v[20:21], v[6:7], v[10:11]
	v_mul_f64 v[10:11], v[4:5], v[10:11]
	s_delay_alu instid0(VALU_DEP_2) | instskip(NEXT) | instid1(VALU_DEP_2)
	v_fma_f64 v[4:5], v[4:5], v[8:9], -v[20:21]
	v_fma_f64 v[6:7], v[6:7], v[8:9], v[10:11]
	ds_load_b128 v[8:11], v252 offset:1920
	;; [unrolled: 7-line block ×5, first 2 shown]
	s_waitcnt vmcnt(0) lgkmcnt(0)
	v_mul_f64 v[20:21], v[212:213], v[216:217]
	v_mul_f64 v[22:23], v[210:211], v[216:217]
	s_delay_alu instid0(VALU_DEP_2) | instskip(NEXT) | instid1(VALU_DEP_2)
	v_fma_f64 v[208:209], v[210:211], v[214:215], -v[20:21]
	v_fma_f64 v[210:211], v[212:213], v[214:215], v[22:23]
	global_load_b128 v[212:215], v[24:25], off offset:704
	s_waitcnt vmcnt(0)
	v_mul_f64 v[20:21], v[224:225], v[214:215]
	v_mul_f64 v[22:23], v[222:223], v[214:215]
	s_delay_alu instid0(VALU_DEP_2) | instskip(NEXT) | instid1(VALU_DEP_2)
	v_fma_f64 v[214:215], v[222:223], v[212:213], -v[20:21]
	v_fma_f64 v[216:217], v[224:225], v[212:213], v[22:23]
	global_load_b128 v[222:225], v[24:25], off offset:1424
	s_waitcnt vmcnt(0)
	;; [unrolled: 7-line block ×4, first 2 shown]
	v_mul_f64 v[20:21], v[240:241], v[236:237]
	v_mul_f64 v[22:23], v[238:239], v[236:237]
	s_delay_alu instid0(VALU_DEP_2) | instskip(NEXT) | instid1(VALU_DEP_2)
	v_fma_f64 v[236:237], v[238:239], v[234:235], -v[20:21]
	v_fma_f64 v[238:239], v[240:241], v[234:235], v[22:23]
	ds_store_b128 v252, v[218:221] offset:480
	ds_store_b128 v252, v[4:7] offset:1200
	;; [unrolled: 1-line block ×10, first 2 shown]
.LBB0_9:
	s_or_b32 exec_lo, exec_lo, s1
	s_waitcnt lgkmcnt(0)
	s_barrier
	buffer_gl0_inv
	ds_load_b128 v[208:211], v253
	ds_load_b128 v[212:215], v253 offset:720
	ds_load_b128 v[244:247], v253 offset:1440
	;; [unrolled: 1-line block ×9, first 2 shown]
	s_and_saveexec_b32 s0, vcc_lo
	s_cbranch_execz .LBB0_11
; %bb.10:
	ds_load_b128 v[188:191], v252 offset:480
	ds_load_b128 v[192:195], v252 offset:1200
	;; [unrolled: 1-line block ×10, first 2 shown]
.LBB0_11:
	s_or_b32 exec_lo, exec_lo, s0
	s_waitcnt lgkmcnt(7)
	v_add_f64 v[4:5], v[208:209], v[244:245]
	v_add_f64 v[6:7], v[210:211], v[246:247]
	s_waitcnt lgkmcnt(2)
	v_add_f64 v[248:249], v[226:227], v[218:219]
	s_waitcnt lgkmcnt(1)
	v_add_f64 v[8:9], v[244:245], v[232:233]
	v_add_f64 v[22:23], v[244:245], -v[232:233]
	v_add_f64 v[12:13], v[244:245], -v[240:241]
	;; [unrolled: 1-line block ×4, first 2 shown]
	s_waitcnt lgkmcnt(0)
	v_add_f64 v[32:33], v[228:229], -v[220:221]
	v_add_f64 v[36:37], v[228:229], -v[224:225]
	v_add_f64 v[38:39], v[230:231], -v[226:227]
	v_add_f64 v[250:251], v[224:225], v[216:217]
	v_add_f64 v[2:3], v[220:221], -v[216:217]
	v_add_f64 v[40:41], v[222:223], -v[218:219]
	s_mov_b32 s12, 0x134454ff
	s_mov_b32 s13, 0xbfee6f0e
	;; [unrolled: 1-line block ×4, first 2 shown]
	v_add_f64 v[10:11], v[246:247], v[234:235]
	v_add_f64 v[20:21], v[246:247], -v[234:235]
	v_add_f64 v[14:15], v[246:247], -v[242:243]
	;; [unrolled: 1-line block ×3, first 2 shown]
	v_add_f64 v[16:17], v[240:241], v[236:237]
	v_add_f64 v[18:19], v[242:243], v[238:239]
	v_add_f64 v[246:247], v[234:235], -v[238:239]
	v_add_f64 v[34:35], v[230:231], -v[222:223]
	v_add_f64 v[0:1], v[224:225], -v[216:217]
	s_mov_b32 s2, 0x4755a5e
	s_mov_b32 s3, 0xbfe2cf23
	;; [unrolled: 1-line block ×4, first 2 shown]
	v_add_f64 v[28:29], v[230:231], v[222:223]
	v_add_f64 v[30:31], v[228:229], v[220:221]
	s_mov_b32 s0, 0x372fe950
	s_mov_b32 s1, 0x3fd3c6ef
	;; [unrolled: 1-line block ×4, first 2 shown]
	v_add_f64 v[42:43], v[218:219], -v[222:223]
	v_add_f64 v[4:5], v[4:5], v[240:241]
	v_add_f64 v[6:7], v[6:7], v[242:243]
	v_fma_f64 v[248:249], v[248:249], -0.5, v[214:215]
	v_add_f64 v[242:243], v[242:243], -v[238:239]
	v_add_f64 v[240:241], v[240:241], -v[236:237]
	v_fma_f64 v[46:47], v[8:9], -0.5, v[208:209]
	s_mov_b32 s19, 0xbfd3c6ef
	s_mov_b32 s18, s0
	s_mov_b32 s21, 0xbfe9e377
	s_mov_b32 s20, s16
	v_fma_f64 v[250:251], v[250:251], -0.5, v[212:213]
	v_add_f64 v[2:3], v[36:37], v[2:3]
	v_add_f64 v[36:37], v[38:39], v[40:41]
	;; [unrolled: 1-line block ×3, first 2 shown]
	s_barrier
	buffer_gl0_inv
	v_fma_f64 v[50:51], v[10:11], -0.5, v[210:211]
	v_fma_f64 v[44:45], v[16:17], -0.5, v[208:209]
	;; [unrolled: 1-line block ×3, first 2 shown]
	v_add_f64 v[40:41], v[14:15], v[246:247]
	v_fma_f64 v[28:29], v[28:29], -0.5, v[214:215]
	v_fma_f64 v[30:31], v[30:31], -0.5, v[212:213]
	v_add_f64 v[4:5], v[4:5], v[236:237]
	v_add_f64 v[6:7], v[6:7], v[238:239]
	v_add_f64 v[236:237], v[236:237], -v[232:233]
	v_add_f64 v[238:239], v[238:239], -v[234:235]
	v_fma_f64 v[12:13], v[32:33], s[14:15], v[248:249]
	v_fma_f64 v[14:15], v[34:35], s[12:13], v[250:251]
	v_add_f64 v[232:233], v[4:5], v[232:233]
	v_add_f64 v[234:235], v[6:7], v[234:235]
	;; [unrolled: 1-line block ×4, first 2 shown]
	v_add_f64 v[230:231], v[226:227], -v[230:231]
	v_add_f64 v[228:229], v[224:225], -v[228:229]
	v_fma_f64 v[12:13], v[0:1], s[8:9], v[12:13]
	v_add_f64 v[24:25], v[24:25], v[236:237]
	v_add_f64 v[26:27], v[26:27], v[238:239]
	;; [unrolled: 1-line block ×4, first 2 shown]
	v_add_f64 v[225:226], v[226:227], -v[218:219]
	v_add_f64 v[42:43], v[230:231], v[42:43]
	v_fma_f64 v[12:13], v[36:37], s[0:1], v[12:13]
	v_add_f64 v[4:5], v[4:5], v[216:217]
	v_add_f64 v[6:7], v[6:7], v[218:219]
	v_fma_f64 v[14:15], v[225:226], s[2:3], v[14:15]
	v_add_f64 v[216:217], v[216:217], -v[220:221]
	v_mul_f64 v[16:17], v[12:13], s[2:3]
	v_add_f64 v[218:219], v[4:5], v[220:221]
	v_add_f64 v[220:221], v[6:7], v[222:223]
	v_fma_f64 v[14:15], v[2:3], s[0:1], v[14:15]
	s_delay_alu instid0(VALU_DEP_3) | instskip(SKIP_1) | instid1(VALU_DEP_3)
	v_add_f64 v[4:5], v[232:233], v[218:219]
	v_add_f64 v[8:9], v[232:233], -v[218:219]
	v_fma_f64 v[16:17], v[14:15], s[16:17], v[16:17]
	v_mul_f64 v[14:15], v[14:15], s[8:9]
	v_add_f64 v[217:218], v[228:229], v[216:217]
	v_add_f64 v[6:7], v[234:235], v[220:221]
	v_add_f64 v[10:11], v[234:235], -v[220:221]
	ds_store_b128 v255, v[4:7]
	ds_store_b128 v255, v[8:11] offset:80
	v_fma_f64 v[18:19], v[12:13], s[16:17], v[14:15]
	v_fma_f64 v[12:13], v[20:21], s[12:13], v[44:45]
	;; [unrolled: 1-line block ×3, first 2 shown]
	s_delay_alu instid0(VALU_DEP_2) | instskip(NEXT) | instid1(VALU_DEP_2)
	v_fma_f64 v[12:13], v[242:243], s[2:3], v[12:13]
	v_fma_f64 v[14:15], v[240:241], s[8:9], v[14:15]
	s_delay_alu instid0(VALU_DEP_2) | instskip(NEXT) | instid1(VALU_DEP_2)
	v_fma_f64 v[208:209], v[38:39], s[0:1], v[12:13]
	v_fma_f64 v[210:211], v[40:41], s[0:1], v[14:15]
	s_delay_alu instid0(VALU_DEP_2) | instskip(SKIP_2) | instid1(VALU_DEP_4)
	v_add_f64 v[12:13], v[208:209], v[16:17]
	v_add_f64 v[16:17], v[208:209], -v[16:17]
	v_fma_f64 v[208:209], v[0:1], s[12:13], v[28:29]
	v_add_f64 v[14:15], v[210:211], v[18:19]
	v_add_f64 v[18:19], v[210:211], -v[18:19]
	v_fma_f64 v[210:211], v[225:226], s[14:15], v[30:31]
	v_fma_f64 v[28:29], v[0:1], s[14:15], v[28:29]
	;; [unrolled: 1-line block ×4, first 2 shown]
	s_delay_alu instid0(VALU_DEP_4) | instskip(NEXT) | instid1(VALU_DEP_4)
	v_fma_f64 v[210:211], v[34:35], s[2:3], v[210:211]
	v_fma_f64 v[28:29], v[32:33], s[2:3], v[28:29]
	s_delay_alu instid0(VALU_DEP_4) | instskip(NEXT) | instid1(VALU_DEP_4)
	v_fma_f64 v[30:31], v[34:35], s[8:9], v[30:31]
	v_fma_f64 v[208:209], v[42:43], s[0:1], v[208:209]
	;; [unrolled: 3-line block ×3, first 2 shown]
	v_fma_f64 v[42:43], v[242:243], s[12:13], v[46:47]
	v_fma_f64 v[30:31], v[217:218], s[0:1], v[30:31]
	v_mul_f64 v[212:213], v[208:209], s[12:13]
	v_mul_f64 v[208:209], v[208:209], s[0:1]
	s_delay_alu instid0(VALU_DEP_4) | instskip(NEXT) | instid1(VALU_DEP_3)
	v_fma_f64 v[42:43], v[20:21], s[8:9], v[42:43]
	v_fma_f64 v[213:214], v[210:211], s[0:1], v[212:213]
	s_delay_alu instid0(VALU_DEP_3) | instskip(SKIP_2) | instid1(VALU_DEP_2)
	v_fma_f64 v[215:216], v[210:211], s[14:15], v[208:209]
	v_fma_f64 v[208:209], v[242:243], s[14:15], v[46:47]
	;; [unrolled: 1-line block ×4, first 2 shown]
	s_delay_alu instid0(VALU_DEP_2) | instskip(SKIP_1) | instid1(VALU_DEP_3)
	v_fma_f64 v[210:211], v[22:23], s[8:9], v[210:211]
	v_fma_f64 v[20:21], v[20:21], s[14:15], v[44:45]
	v_fma_f64 v[219:220], v[24:25], s[0:1], v[208:209]
	v_fma_f64 v[24:25], v[24:25], s[0:1], v[42:43]
	v_fma_f64 v[42:43], v[240:241], s[14:15], v[50:51]
	v_fma_f64 v[221:222], v[26:27], s[0:1], v[210:211]
	v_fma_f64 v[20:21], v[242:243], s[8:9], v[20:21]
	v_add_nc_u32_e32 v208, 0x780, v253
	v_add_f64 v[209:210], v[219:220], v[213:214]
	v_add_f64 v[213:214], v[219:220], -v[213:214]
	v_fma_f64 v[42:43], v[22:23], s[2:3], v[42:43]
	v_add_f64 v[211:212], v[221:222], v[215:216]
	v_add_f64 v[215:216], v[221:222], -v[215:216]
	v_fma_f64 v[22:23], v[22:23], s[12:13], v[48:49]
	v_fma_f64 v[20:21], v[38:39], s[0:1], v[20:21]
	v_fma_f64 v[26:27], v[26:27], s[0:1], v[42:43]
	v_mul_f64 v[42:43], v[28:29], s[12:13]
	v_mul_f64 v[28:29], v[28:29], s[18:19]
	v_fma_f64 v[22:23], v[240:241], s[2:3], v[22:23]
	s_delay_alu instid0(VALU_DEP_3) | instskip(NEXT) | instid1(VALU_DEP_3)
	v_fma_f64 v[42:43], v[30:31], s[18:19], v[42:43]
	v_fma_f64 v[28:29], v[30:31], s[14:15], v[28:29]
	s_delay_alu instid0(VALU_DEP_3) | instskip(NEXT) | instid1(VALU_DEP_3)
	v_fma_f64 v[22:23], v[40:41], s[0:1], v[22:23]
	v_add_f64 v[217:218], v[24:25], v[42:43]
	v_add_f64 v[221:222], v[24:25], -v[42:43]
	v_fma_f64 v[24:25], v[32:33], s[12:13], v[248:249]
	v_add_f64 v[219:220], v[26:27], v[28:29]
	v_add_f64 v[223:224], v[26:27], -v[28:29]
	v_fma_f64 v[26:27], v[34:35], s[14:15], v[250:251]
	s_delay_alu instid0(VALU_DEP_4) | instskip(NEXT) | instid1(VALU_DEP_2)
	v_fma_f64 v[0:1], v[0:1], s[2:3], v[24:25]
	v_fma_f64 v[24:25], v[225:226], s[8:9], v[26:27]
	s_delay_alu instid0(VALU_DEP_2) | instskip(NEXT) | instid1(VALU_DEP_2)
	v_fma_f64 v[0:1], v[36:37], s[0:1], v[0:1]
	v_fma_f64 v[2:3], v[2:3], s[0:1], v[24:25]
	s_delay_alu instid0(VALU_DEP_2) | instskip(SKIP_1) | instid1(VALU_DEP_2)
	v_mul_f64 v[24:25], v[0:1], s[2:3]
	v_mul_f64 v[0:1], v[0:1], s[20:21]
	v_fma_f64 v[24:25], v[2:3], s[20:21], v[24:25]
	s_delay_alu instid0(VALU_DEP_2) | instskip(NEXT) | instid1(VALU_DEP_2)
	v_fma_f64 v[0:1], v[2:3], s[8:9], v[0:1]
	v_add_f64 v[225:226], v[20:21], v[24:25]
	s_delay_alu instid0(VALU_DEP_2)
	v_add_f64 v[227:228], v[22:23], v[0:1]
	v_add_f64 v[229:230], v[20:21], -v[24:25]
	v_add_f64 v[231:232], v[22:23], -v[0:1]
	ds_store_b128 v255, v[12:15] offset:16
	ds_store_b128 v255, v[209:212] offset:32
	;; [unrolled: 1-line block ×8, first 2 shown]
	s_and_saveexec_b32 s22, vcc_lo
	s_cbranch_execz .LBB0_13
; %bb.12:
	v_add_f64 v[0:1], v[190:191], v[202:203]
	v_add_f64 v[2:3], v[188:189], v[200:201]
	;; [unrolled: 1-line block ×5, first 2 shown]
	v_add_f64 v[22:23], v[202:203], -v[70:71]
	v_add_f64 v[16:17], v[70:71], -v[66:67]
	v_add_f64 v[32:33], v[66:67], -v[70:71]
	v_add_f64 v[6:7], v[200:201], v[68:69]
	v_add_f64 v[20:21], v[200:201], -v[68:69]
	v_add_f64 v[12:13], v[202:203], -v[206:207]
	v_add_f64 v[8:9], v[206:207], v[66:67]
	v_add_f64 v[10:11], v[204:205], v[64:65]
	v_add_f64 v[18:19], v[68:69], -v[64:65]
	v_add_f64 v[34:35], v[64:65], -v[68:69]
	v_add_f64 v[44:45], v[196:197], v[60:61]
	v_add_f64 v[46:47], v[198:199], -v[62:63]
	v_add_f64 v[14:15], v[200:201], -v[204:205]
	v_add_f64 v[28:29], v[204:205], -v[64:65]
	v_add_f64 v[30:31], v[206:207], -v[66:67]
	v_add_f64 v[40:41], v[198:199], v[62:63]
	v_add_f64 v[42:43], v[196:197], -v[60:61]
	v_add_f64 v[48:49], v[198:199], -v[54:55]
	v_add_f64 v[50:51], v[54:55], -v[198:199]
	v_add_f64 v[198:199], v[54:55], -v[58:59]
	v_add_f64 v[24:25], v[206:207], -v[202:203]
	v_add_f64 v[26:27], v[204:205], -v[200:201]
	v_add_f64 v[0:1], v[0:1], v[206:207]
	v_add_f64 v[2:3], v[2:3], v[204:205]
	;; [unrolled: 1-line block ×4, first 2 shown]
	v_fma_f64 v[44:45], v[44:45], -0.5, v[192:193]
	v_fma_f64 v[40:41], v[40:41], -0.5, v[194:195]
	v_add_f64 v[24:25], v[24:25], v[32:33]
	v_add_f64 v[26:27], v[26:27], v[34:35]
	;; [unrolled: 1-line block ×6, first 2 shown]
	v_add_f64 v[64:65], v[196:197], -v[52:53]
	v_add_f64 v[66:67], v[52:53], -v[196:197]
	;; [unrolled: 1-line block ×3, first 2 shown]
	v_fma_f64 v[34:35], v[198:199], s[14:15], v[44:45]
	v_add_f64 v[0:1], v[0:1], v[70:71]
	v_add_f64 v[70:71], v[52:53], v[56:57]
	;; [unrolled: 1-line block ×5, first 2 shown]
	v_add_f64 v[52:53], v[62:63], -v[58:59]
	v_add_f64 v[54:55], v[58:59], -v[62:63]
	;; [unrolled: 1-line block ×4, first 2 shown]
	v_add_f64 v[38:39], v[38:39], v[60:61]
	v_fma_f64 v[60:61], v[4:5], -0.5, v[190:191]
	v_fma_f64 v[62:63], v[6:7], -0.5, v[188:189]
	v_fma_f64 v[32:33], v[196:197], s[12:13], v[40:41]
	v_fma_f64 v[34:35], v[46:47], s[2:3], v[34:35]
	v_fma_f64 v[70:71], v[70:71], -0.5, v[192:193]
	v_fma_f64 v[192:193], v[8:9], -0.5, v[190:191]
	;; [unrolled: 1-line block ×4, first 2 shown]
	v_add_f64 v[6:7], v[0:1], -v[36:37]
	v_add_f64 v[10:11], v[0:1], v[36:37]
	v_add_f64 v[36:37], v[12:13], v[16:17]
	;; [unrolled: 1-line block ×3, first 2 shown]
	v_add_f64 v[4:5], v[2:3], -v[38:39]
	v_add_f64 v[8:9], v[2:3], v[38:39]
	v_add_f64 v[2:3], v[64:65], v[58:59]
	;; [unrolled: 1-line block ×3, first 2 shown]
	v_fma_f64 v[32:33], v[42:43], s[8:9], v[32:33]
	v_fma_f64 v[12:13], v[46:47], s[12:13], v[70:71]
	;; [unrolled: 1-line block ×3, first 2 shown]
	s_delay_alu instid0(VALU_DEP_2) | instskip(NEXT) | instid1(VALU_DEP_2)
	v_fma_f64 v[12:13], v[198:199], s[2:3], v[12:13]
	v_fma_f64 v[14:15], v[196:197], s[8:9], v[14:15]
	s_delay_alu instid0(VALU_DEP_2) | instskip(NEXT) | instid1(VALU_DEP_2)
	v_fma_f64 v[12:13], v[2:3], s[0:1], v[12:13]
	v_fma_f64 v[14:15], v[0:1], s[0:1], v[14:15]
	s_delay_alu instid0(VALU_DEP_2) | instskip(NEXT) | instid1(VALU_DEP_1)
	v_mul_f64 v[16:17], v[12:13], s[8:9]
	v_fma_f64 v[16:17], v[14:15], s[16:17], v[16:17]
	v_mul_f64 v[14:15], v[14:15], s[2:3]
	s_delay_alu instid0(VALU_DEP_1) | instskip(SKIP_2) | instid1(VALU_DEP_2)
	v_fma_f64 v[48:49], v[12:13], s[16:17], v[14:15]
	v_fma_f64 v[12:13], v[20:21], s[14:15], v[192:193]
	;; [unrolled: 1-line block ×4, first 2 shown]
	s_delay_alu instid0(VALU_DEP_2) | instskip(NEXT) | instid1(VALU_DEP_2)
	v_fma_f64 v[14:15], v[30:31], s[2:3], v[14:15]
	v_fma_f64 v[18:19], v[36:37], s[0:1], v[12:13]
	s_delay_alu instid0(VALU_DEP_2) | instskip(NEXT) | instid1(VALU_DEP_2)
	v_fma_f64 v[52:53], v[38:39], s[0:1], v[14:15]
	v_add_f64 v[14:15], v[18:19], v[16:17]
	s_delay_alu instid0(VALU_DEP_2)
	v_add_f64 v[12:13], v[52:53], v[48:49]
	v_add_f64 v[18:19], v[18:19], -v[16:17]
	v_add_f64 v[16:17], v[52:53], -v[48:49]
	v_add_f64 v[48:49], v[50:51], v[54:55]
	v_add_f64 v[50:51], v[66:67], v[56:57]
	v_fma_f64 v[54:55], v[30:31], s[14:15], v[62:63]
	s_delay_alu instid0(VALU_DEP_3) | instskip(NEXT) | instid1(VALU_DEP_3)
	v_fma_f64 v[32:33], v[48:49], s[0:1], v[32:33]
	v_fma_f64 v[34:35], v[50:51], s[0:1], v[34:35]
	s_delay_alu instid0(VALU_DEP_3) | instskip(NEXT) | instid1(VALU_DEP_3)
	v_fma_f64 v[54:55], v[22:23], s[2:3], v[54:55]
	v_mul_f64 v[52:53], v[32:33], s[0:1]
	v_mul_f64 v[32:33], v[32:33], s[12:13]
	s_delay_alu instid0(VALU_DEP_3) | instskip(NEXT) | instid1(VALU_DEP_3)
	v_fma_f64 v[64:65], v[26:27], s[0:1], v[54:55]
	v_fma_f64 v[52:53], v[34:35], s[14:15], v[52:53]
	s_delay_alu instid0(VALU_DEP_3) | instskip(SKIP_1) | instid1(VALU_DEP_2)
	v_fma_f64 v[32:33], v[34:35], s[0:1], v[32:33]
	v_fma_f64 v[34:35], v[28:29], s[12:13], v[60:61]
	v_add_f64 v[56:57], v[64:65], v[32:33]
	s_delay_alu instid0(VALU_DEP_2) | instskip(NEXT) | instid1(VALU_DEP_1)
	v_fma_f64 v[34:35], v[20:21], s[8:9], v[34:35]
	v_fma_f64 v[34:35], v[24:25], s[0:1], v[34:35]
	s_delay_alu instid0(VALU_DEP_1)
	v_add_f64 v[54:55], v[34:35], -v[52:53]
	v_add_f64 v[58:59], v[34:35], v[52:53]
	v_add_f64 v[52:53], v[64:65], -v[32:33]
	v_fma_f64 v[32:33], v[196:197], s[14:15], v[40:41]
	v_fma_f64 v[40:41], v[28:29], s[14:15], v[60:61]
	;; [unrolled: 1-line block ×3, first 2 shown]
	s_delay_alu instid0(VALU_DEP_3) | instskip(NEXT) | instid1(VALU_DEP_3)
	v_fma_f64 v[32:33], v[42:43], s[2:3], v[32:33]
	v_fma_f64 v[40:41], v[20:21], s[2:3], v[40:41]
	s_delay_alu instid0(VALU_DEP_3) | instskip(SKIP_1) | instid1(VALU_DEP_4)
	v_fma_f64 v[34:35], v[46:47], s[8:9], v[34:35]
	v_fma_f64 v[20:21], v[20:21], s[12:13], v[192:193]
	;; [unrolled: 1-line block ×3, first 2 shown]
	s_delay_alu instid0(VALU_DEP_4) | instskip(SKIP_3) | instid1(VALU_DEP_3)
	v_fma_f64 v[24:25], v[24:25], s[0:1], v[40:41]
	v_fma_f64 v[40:41], v[30:31], s[12:13], v[62:63]
	;; [unrolled: 1-line block ×6, first 2 shown]
	s_delay_alu instid0(VALU_DEP_3) | instskip(NEXT) | instid1(VALU_DEP_3)
	v_fma_f64 v[20:21], v[36:37], s[0:1], v[20:21]
	v_fma_f64 v[26:27], v[26:27], s[0:1], v[40:41]
	v_mul_f64 v[40:41], v[32:33], s[18:19]
	v_mul_f64 v[32:33], v[32:33], s[12:13]
	v_fma_f64 v[22:23], v[30:31], s[8:9], v[22:23]
	s_delay_alu instid0(VALU_DEP_3) | instskip(NEXT) | instid1(VALU_DEP_3)
	v_fma_f64 v[40:41], v[34:35], s[14:15], v[40:41]
	v_fma_f64 v[32:33], v[34:35], s[18:19], v[32:33]
	s_delay_alu instid0(VALU_DEP_3) | instskip(NEXT) | instid1(VALU_DEP_3)
	v_fma_f64 v[22:23], v[38:39], s[0:1], v[22:23]
	v_add_f64 v[62:63], v[24:25], -v[40:41]
	v_add_f64 v[66:67], v[24:25], v[40:41]
	v_fma_f64 v[24:25], v[42:43], s[12:13], v[68:69]
	v_add_f64 v[64:65], v[26:27], v[32:33]
	v_add_f64 v[60:61], v[26:27], -v[32:33]
	v_fma_f64 v[26:27], v[46:47], s[14:15], v[70:71]
	s_delay_alu instid0(VALU_DEP_4) | instskip(NEXT) | instid1(VALU_DEP_2)
	v_fma_f64 v[24:25], v[196:197], s[2:3], v[24:25]
	v_fma_f64 v[26:27], v[198:199], s[8:9], v[26:27]
	s_delay_alu instid0(VALU_DEP_2) | instskip(NEXT) | instid1(VALU_DEP_2)
	v_fma_f64 v[0:1], v[0:1], s[0:1], v[24:25]
	v_fma_f64 v[2:3], v[2:3], s[0:1], v[26:27]
	s_delay_alu instid0(VALU_DEP_2) | instskip(SKIP_1) | instid1(VALU_DEP_2)
	v_mul_f64 v[24:25], v[0:1], s[20:21]
	v_mul_f64 v[0:1], v[0:1], s[2:3]
	v_fma_f64 v[24:25], v[2:3], s[8:9], v[24:25]
	s_delay_alu instid0(VALU_DEP_2) | instskip(NEXT) | instid1(VALU_DEP_2)
	v_fma_f64 v[0:1], v[2:3], s[20:21], v[0:1]
	v_add_f64 v[70:71], v[20:21], v[24:25]
	s_delay_alu instid0(VALU_DEP_2)
	v_add_f64 v[68:69], v[22:23], v[0:1]
	v_add_f64 v[188:189], v[22:23], -v[0:1]
	s_clause 0x1
	scratch_load_b32 v0, off, off offset:256
	scratch_load_b32 v1, off, off offset:260
	v_add_f64 v[190:191], v[20:21], -v[24:25]
	s_waitcnt vmcnt(0)
	v_lshl_add_u32 v0, v1, 4, v0
	ds_store_b128 v0, v[8:11]
	ds_store_b128 v0, v[4:7] offset:80
	ds_store_b128 v0, v[12:15] offset:16
	;; [unrolled: 1-line block ×9, first 2 shown]
.LBB0_13:
	s_or_b32 exec_lo, exec_lo, s22
	s_waitcnt lgkmcnt(0)
	s_barrier
	buffer_gl0_inv
	ds_load_b128 v[4:7], v253 offset:1440
	scratch_load_b128 v[10:13], off, off offset:220 ; 16-byte Folded Reload
	s_waitcnt lgkmcnt(0)
	v_mul_f64 v[0:1], v[106:107], v[6:7]
	v_mul_f64 v[2:3], v[106:107], v[4:5]
	s_delay_alu instid0(VALU_DEP_2) | instskip(NEXT) | instid1(VALU_DEP_2)
	v_fma_f64 v[0:1], v[104:105], v[4:5], v[0:1]
	v_fma_f64 v[2:3], v[104:105], v[6:7], -v[2:3]
	ds_load_b128 v[4:7], v253 offset:2880
	s_waitcnt lgkmcnt(0)
	v_mul_f64 v[8:9], v[102:103], v[6:7]
	s_delay_alu instid0(VALU_DEP_1) | instskip(SKIP_1) | instid1(VALU_DEP_1)
	v_fma_f64 v[16:17], v[100:101], v[4:5], v[8:9]
	v_mul_f64 v[4:5], v[102:103], v[4:5]
	v_fma_f64 v[18:19], v[100:101], v[6:7], -v[4:5]
	ds_load_b128 v[4:7], v253 offset:4320
	s_waitcnt lgkmcnt(0)
	v_mul_f64 v[8:9], v[98:99], v[6:7]
	s_delay_alu instid0(VALU_DEP_1) | instskip(SKIP_1) | instid1(VALU_DEP_2)
	v_fma_f64 v[20:21], v[96:97], v[4:5], v[8:9]
	v_mul_f64 v[4:5], v[98:99], v[4:5]
	v_add_f64 v[36:37], v[16:17], -v[20:21]
	s_delay_alu instid0(VALU_DEP_2) | instskip(SKIP_4) | instid1(VALU_DEP_2)
	v_fma_f64 v[22:23], v[96:97], v[6:7], -v[4:5]
	ds_load_b128 v[4:7], v253 offset:5760
	s_waitcnt lgkmcnt(0)
	v_mul_f64 v[8:9], v[90:91], v[6:7]
	v_add_f64 v[32:33], v[18:19], -v[22:23]
	v_fma_f64 v[24:25], v[88:89], v[4:5], v[8:9]
	v_mul_f64 v[4:5], v[90:91], v[4:5]
	s_delay_alu instid0(VALU_DEP_2) | instskip(NEXT) | instid1(VALU_DEP_2)
	v_add_f64 v[38:39], v[0:1], -v[24:25]
	v_fma_f64 v[26:27], v[88:89], v[6:7], -v[4:5]
	ds_load_b128 v[4:7], v253 offset:1920
	s_waitcnt vmcnt(0) lgkmcnt(0)
	v_mul_f64 v[8:9], v[12:13], v[6:7]
	v_add_f64 v[34:35], v[2:3], -v[26:27]
	s_delay_alu instid0(VALU_DEP_2) | instskip(SKIP_1) | instid1(VALU_DEP_1)
	v_fma_f64 v[58:59], v[10:11], v[4:5], v[8:9]
	v_mul_f64 v[4:5], v[12:13], v[4:5]
	v_fma_f64 v[56:57], v[10:11], v[6:7], -v[4:5]
	scratch_load_b128 v[10:13], off, off offset:204 ; 16-byte Folded Reload
	ds_load_b128 v[4:7], v253 offset:3360
	s_waitcnt vmcnt(0) lgkmcnt(0)
	v_mul_f64 v[8:9], v[12:13], v[6:7]
	s_delay_alu instid0(VALU_DEP_1) | instskip(SKIP_1) | instid1(VALU_DEP_1)
	v_fma_f64 v[62:63], v[10:11], v[4:5], v[8:9]
	v_mul_f64 v[4:5], v[12:13], v[4:5]
	v_fma_f64 v[64:65], v[10:11], v[6:7], -v[4:5]
	scratch_load_b128 v[10:13], off, off offset:188 ; 16-byte Folded Reload
	ds_load_b128 v[4:7], v253 offset:4800
	s_waitcnt lgkmcnt(0)
	v_mul_f64 v[8:9], v[74:75], v[6:7]
	s_delay_alu instid0(VALU_DEP_1) | instskip(SKIP_1) | instid1(VALU_DEP_1)
	v_fma_f64 v[66:67], v[72:73], v[4:5], v[8:9]
	v_mul_f64 v[4:5], v[74:75], v[4:5]
	v_fma_f64 v[60:61], v[72:73], v[6:7], -v[4:5]
	ds_load_b128 v[4:7], v253 offset:6240
	s_waitcnt vmcnt(0) lgkmcnt(0)
	v_mul_f64 v[8:9], v[12:13], v[6:7]
	s_delay_alu instid0(VALU_DEP_1) | instskip(SKIP_1) | instid1(VALU_DEP_1)
	v_fma_f64 v[68:69], v[10:11], v[4:5], v[8:9]
	v_mul_f64 v[4:5], v[12:13], v[4:5]
	v_fma_f64 v[70:71], v[10:11], v[6:7], -v[4:5]
	ds_load_b128 v[4:7], v253 offset:2400
	s_waitcnt lgkmcnt(0)
	v_mul_f64 v[8:9], v[94:95], v[6:7]
	s_delay_alu instid0(VALU_DEP_1) | instskip(SKIP_1) | instid1(VALU_DEP_1)
	v_fma_f64 v[42:43], v[92:93], v[4:5], v[8:9]
	v_mul_f64 v[4:5], v[94:95], v[4:5]
	v_fma_f64 v[40:41], v[92:93], v[6:7], -v[4:5]
	ds_load_b128 v[4:7], v253 offset:3840
	s_waitcnt lgkmcnt(0)
	;; [unrolled: 7-line block ×4, first 2 shown]
	v_mul_f64 v[8:9], v[86:87], v[6:7]
	s_delay_alu instid0(VALU_DEP_1) | instskip(SKIP_2) | instid1(VALU_DEP_2)
	v_fma_f64 v[52:53], v[84:85], v[4:5], v[8:9]
	v_mul_f64 v[4:5], v[86:87], v[4:5]
	v_add_f64 v[8:9], v[0:1], v[24:25]
	v_fma_f64 v[54:55], v[84:85], v[6:7], -v[4:5]
	v_add_f64 v[4:5], v[16:17], -v[0:1]
	v_add_f64 v[6:7], v[20:21], -v[24:25]
	s_delay_alu instid0(VALU_DEP_1) | instskip(SKIP_2) | instid1(VALU_DEP_1)
	v_add_f64 v[12:13], v[4:5], v[6:7]
	v_add_f64 v[4:5], v[18:19], -v[2:3]
	v_add_f64 v[6:7], v[22:23], -v[26:27]
	v_add_f64 v[14:15], v[4:5], v[6:7]
	ds_load_b128 v[4:7], v253
	ds_load_b128 v[76:79], v253 offset:960
	ds_load_b128 v[80:83], v253 offset:480
	s_waitcnt lgkmcnt(0)
	s_barrier
	buffer_gl0_inv
	v_fma_f64 v[28:29], v[8:9], -0.5, v[4:5]
	v_add_f64 v[8:9], v[2:3], v[26:27]
	s_delay_alu instid0(VALU_DEP_1) | instskip(NEXT) | instid1(VALU_DEP_3)
	v_fma_f64 v[30:31], v[8:9], -0.5, v[6:7]
	v_fma_f64 v[8:9], v[32:33], s[14:15], v[28:29]
	v_fma_f64 v[28:29], v[32:33], s[12:13], v[28:29]
	s_delay_alu instid0(VALU_DEP_3) | instskip(SKIP_1) | instid1(VALU_DEP_4)
	v_fma_f64 v[10:11], v[36:37], s[12:13], v[30:31]
	v_fma_f64 v[30:31], v[36:37], s[14:15], v[30:31]
	;; [unrolled: 1-line block ×3, first 2 shown]
	s_delay_alu instid0(VALU_DEP_4) | instskip(NEXT) | instid1(VALU_DEP_4)
	v_fma_f64 v[28:29], v[34:35], s[8:9], v[28:29]
	v_fma_f64 v[10:11], v[38:39], s[8:9], v[10:11]
	s_delay_alu instid0(VALU_DEP_4) | instskip(NEXT) | instid1(VALU_DEP_4)
	v_fma_f64 v[30:31], v[38:39], s[2:3], v[30:31]
	v_fma_f64 v[8:9], v[12:13], s[0:1], v[8:9]
	s_delay_alu instid0(VALU_DEP_4) | instskip(SKIP_4) | instid1(VALU_DEP_4)
	v_fma_f64 v[12:13], v[12:13], s[0:1], v[28:29]
	v_add_f64 v[28:29], v[16:17], v[20:21]
	v_fma_f64 v[10:11], v[14:15], s[0:1], v[10:11]
	v_fma_f64 v[14:15], v[14:15], s[0:1], v[30:31]
	v_add_f64 v[30:31], v[18:19], v[22:23]
	v_fma_f64 v[28:29], v[28:29], -0.5, v[4:5]
	v_add_f64 v[4:5], v[4:5], v[0:1]
	v_add_f64 v[0:1], v[0:1], -v[16:17]
	s_delay_alu instid0(VALU_DEP_4) | instskip(SKIP_4) | instid1(VALU_DEP_4)
	v_fma_f64 v[30:31], v[30:31], -0.5, v[6:7]
	v_add_f64 v[6:7], v[6:7], v[2:3]
	v_add_f64 v[2:3], v[2:3], -v[18:19]
	v_add_f64 v[4:5], v[4:5], v[16:17]
	v_add_f64 v[16:17], v[24:25], -v[20:21]
	;; [unrolled: 2-line block ×3, first 2 shown]
	s_delay_alu instid0(VALU_DEP_4)
	v_add_f64 v[4:5], v[4:5], v[20:21]
	v_fma_f64 v[20:21], v[34:35], s[12:13], v[28:29]
	v_add_f64 v[0:1], v[0:1], v[16:17]
	v_add_f64 v[6:7], v[6:7], v[22:23]
	v_fma_f64 v[22:23], v[34:35], s[14:15], v[28:29]
	v_add_f64 v[4:5], v[4:5], v[24:25]
	v_fma_f64 v[16:17], v[32:33], s[2:3], v[20:21]
	v_fma_f64 v[24:25], v[38:39], s[14:15], v[30:31]
	v_add_f64 v[2:3], v[2:3], v[18:19]
	v_add_f64 v[6:7], v[6:7], v[26:27]
	v_fma_f64 v[20:21], v[32:33], s[8:9], v[22:23]
	v_fma_f64 v[26:27], v[38:39], s[12:13], v[30:31]
	;; [unrolled: 1-line block ×4, first 2 shown]
	v_add_f64 v[29:30], v[68:69], -v[66:67]
	v_add_f64 v[31:32], v[70:71], -v[60:61]
	v_fma_f64 v[72:73], v[0:1], s[0:1], v[20:21]
	scratch_load_b32 v0, off, off offset:244 ; 4-byte Folded Reload
	v_fma_f64 v[22:23], v[36:37], s[2:3], v[26:27]
	v_fma_f64 v[18:19], v[2:3], s[0:1], v[18:19]
	v_add_f64 v[25:26], v[58:59], -v[62:63]
	v_add_f64 v[27:28], v[56:57], -v[64:65]
	s_delay_alu instid0(VALU_DEP_4)
	v_fma_f64 v[74:75], v[2:3], s[0:1], v[22:23]
	v_add_f64 v[2:3], v[66:67], -v[68:69]
	v_add_f64 v[21:22], v[58:59], -v[68:69]
	s_waitcnt vmcnt(0)
	ds_store_b128 v0, v[4:7]
	ds_store_b128 v0, v[16:19] offset:160
	ds_store_b128 v0, v[8:11] offset:320
	;; [unrolled: 1-line block ×4, first 2 shown]
	v_add_f64 v[0:1], v[62:63], -v[58:59]
	v_add_f64 v[4:5], v[60:61], -v[70:71]
	v_add_f64 v[19:20], v[62:63], -v[66:67]
	v_add_f64 v[15:16], v[64:65], -v[60:61]
	v_add_f64 v[17:18], v[56:57], -v[70:71]
	v_add_f64 v[13:14], v[82:83], v[56:57]
	v_add_f64 v[0:1], v[0:1], v[2:3]
	v_add_f64 v[2:3], v[64:65], -v[56:57]
	s_delay_alu instid0(VALU_DEP_3) | instskip(NEXT) | instid1(VALU_DEP_2)
	v_add_f64 v[13:14], v[13:14], v[64:65]
	v_add_f64 v[9:10], v[2:3], v[4:5]
	;; [unrolled: 1-line block ×3, first 2 shown]
	s_delay_alu instid0(VALU_DEP_3) | instskip(NEXT) | instid1(VALU_DEP_2)
	v_add_f64 v[13:14], v[13:14], v[60:61]
	v_fma_f64 v[7:8], v[2:3], -0.5, v[80:81]
	v_add_f64 v[2:3], v[56:57], v[70:71]
	s_delay_alu instid0(VALU_DEP_3) | instskip(NEXT) | instid1(VALU_DEP_2)
	v_add_f64 v[13:14], v[13:14], v[70:71]
	v_fma_f64 v[11:12], v[2:3], -0.5, v[82:83]
	s_delay_alu instid0(VALU_DEP_4) | instskip(SKIP_1) | instid1(VALU_DEP_3)
	v_fma_f64 v[2:3], v[15:16], s[14:15], v[7:8]
	v_fma_f64 v[7:8], v[15:16], s[12:13], v[7:8]
	;; [unrolled: 1-line block ×4, first 2 shown]
	s_delay_alu instid0(VALU_DEP_4) | instskip(NEXT) | instid1(VALU_DEP_4)
	v_fma_f64 v[2:3], v[17:18], s[2:3], v[2:3]
	v_fma_f64 v[7:8], v[17:18], s[8:9], v[7:8]
	s_delay_alu instid0(VALU_DEP_4) | instskip(NEXT) | instid1(VALU_DEP_4)
	v_fma_f64 v[5:6], v[21:22], s[8:9], v[4:5]
	v_fma_f64 v[11:12], v[21:22], s[2:3], v[11:12]
	;; [unrolled: 3-line block ×3, first 2 shown]
	v_add_f64 v[0:1], v[62:63], v[66:67]
	v_fma_f64 v[5:6], v[9:10], s[0:1], v[5:6]
	v_fma_f64 v[9:10], v[9:10], s[0:1], v[11:12]
	v_add_f64 v[11:12], v[64:65], v[60:61]
	s_delay_alu instid0(VALU_DEP_4) | instskip(NEXT) | instid1(VALU_DEP_2)
	v_fma_f64 v[0:1], v[0:1], -0.5, v[80:81]
	v_fma_f64 v[23:24], v[11:12], -0.5, v[82:83]
	v_add_f64 v[11:12], v[80:81], v[58:59]
	s_delay_alu instid0(VALU_DEP_3) | instskip(SKIP_1) | instid1(VALU_DEP_4)
	v_fma_f64 v[33:34], v[17:18], s[12:13], v[0:1]
	v_fma_f64 v[0:1], v[17:18], s[14:15], v[0:1]
	;; [unrolled: 1-line block ×3, first 2 shown]
	s_delay_alu instid0(VALU_DEP_4)
	v_add_f64 v[11:12], v[11:12], v[62:63]
	v_fma_f64 v[21:22], v[21:22], s[12:13], v[23:24]
	v_add_f64 v[23:24], v[25:26], v[29:30]
	v_add_f64 v[25:26], v[27:28], v[31:32]
	v_fma_f64 v[27:28], v[15:16], s[2:3], v[33:34]
	v_fma_f64 v[0:1], v[15:16], s[8:9], v[0:1]
	v_add_f64 v[29:30], v[52:53], -v[48:49]
	v_add_f64 v[31:32], v[54:55], -v[50:51]
	v_fma_f64 v[17:18], v[19:20], s[8:9], v[17:18]
	v_add_f64 v[11:12], v[11:12], v[66:67]
	v_fma_f64 v[19:20], v[19:20], s[2:3], v[21:22]
	v_add_f64 v[21:22], v[42:43], -v[52:53]
	v_fma_f64 v[15:16], v[23:24], s[0:1], v[27:28]
	v_fma_f64 v[56:57], v[23:24], s[0:1], v[0:1]
	v_add_f64 v[0:1], v[44:45], -v[42:43]
	v_add_f64 v[27:28], v[40:41], -v[46:47]
	v_fma_f64 v[17:18], v[25:26], s[0:1], v[17:18]
	v_add_f64 v[11:12], v[11:12], v[68:69]
	v_fma_f64 v[58:59], v[25:26], s[0:1], v[19:20]
	ds_store_b128 v254, v[11:14]
	ds_store_b128 v254, v[15:18] offset:160
	ds_store_b128 v254, v[3:6] offset:320
	;; [unrolled: 1-line block ×4, first 2 shown]
	v_add_f64 v[2:3], v[48:49], -v[52:53]
	v_add_f64 v[4:5], v[50:51], -v[54:55]
	;; [unrolled: 1-line block ×6, first 2 shown]
	v_add_f64 v[13:14], v[78:79], v[40:41]
	v_add_f64 v[0:1], v[0:1], v[2:3]
	v_add_f64 v[2:3], v[46:47], -v[40:41]
	s_delay_alu instid0(VALU_DEP_3) | instskip(NEXT) | instid1(VALU_DEP_2)
	v_add_f64 v[13:14], v[13:14], v[46:47]
	v_add_f64 v[9:10], v[2:3], v[4:5]
	;; [unrolled: 1-line block ×3, first 2 shown]
	s_delay_alu instid0(VALU_DEP_3) | instskip(NEXT) | instid1(VALU_DEP_2)
	v_add_f64 v[13:14], v[13:14], v[50:51]
	v_fma_f64 v[7:8], v[2:3], -0.5, v[76:77]
	v_add_f64 v[2:3], v[40:41], v[54:55]
	s_delay_alu instid0(VALU_DEP_3) | instskip(NEXT) | instid1(VALU_DEP_2)
	v_add_f64 v[13:14], v[13:14], v[54:55]
	v_fma_f64 v[11:12], v[2:3], -0.5, v[78:79]
	s_delay_alu instid0(VALU_DEP_4) | instskip(SKIP_1) | instid1(VALU_DEP_3)
	v_fma_f64 v[2:3], v[15:16], s[14:15], v[7:8]
	v_fma_f64 v[7:8], v[15:16], s[12:13], v[7:8]
	;; [unrolled: 1-line block ×3, first 2 shown]
	s_delay_alu instid0(VALU_DEP_3) | instskip(SKIP_1) | instid1(VALU_DEP_4)
	v_fma_f64 v[2:3], v[17:18], s[2:3], v[2:3]
	v_fma_f64 v[11:12], v[19:20], s[14:15], v[11:12]
	;; [unrolled: 1-line block ×3, first 2 shown]
	s_delay_alu instid0(VALU_DEP_4) | instskip(NEXT) | instid1(VALU_DEP_4)
	v_fma_f64 v[5:6], v[21:22], s[8:9], v[4:5]
	v_fma_f64 v[3:4], v[0:1], s[0:1], v[2:3]
	s_delay_alu instid0(VALU_DEP_4) | instskip(NEXT) | instid1(VALU_DEP_4)
	v_fma_f64 v[11:12], v[21:22], s[2:3], v[11:12]
	v_fma_f64 v[7:8], v[0:1], s[0:1], v[7:8]
	v_add_f64 v[0:1], v[44:45], v[48:49]
	v_fma_f64 v[5:6], v[9:10], s[0:1], v[5:6]
	s_delay_alu instid0(VALU_DEP_4) | instskip(SKIP_1) | instid1(VALU_DEP_4)
	v_fma_f64 v[9:10], v[9:10], s[0:1], v[11:12]
	v_add_f64 v[11:12], v[46:47], v[50:51]
	v_fma_f64 v[0:1], v[0:1], -0.5, v[76:77]
	s_delay_alu instid0(VALU_DEP_2) | instskip(NEXT) | instid1(VALU_DEP_2)
	v_fma_f64 v[23:24], v[11:12], -0.5, v[78:79]
	v_fma_f64 v[33:34], v[17:18], s[12:13], v[0:1]
	v_fma_f64 v[0:1], v[17:18], s[14:15], v[0:1]
	v_add_f64 v[11:12], v[76:77], v[42:43]
	s_delay_alu instid0(VALU_DEP_4)
	v_fma_f64 v[17:18], v[21:22], s[14:15], v[23:24]
	v_fma_f64 v[21:22], v[21:22], s[12:13], v[23:24]
	v_add_f64 v[23:24], v[25:26], v[29:30]
	v_fma_f64 v[0:1], v[15:16], s[8:9], v[0:1]
	v_add_f64 v[11:12], v[11:12], v[44:45]
	v_add_f64 v[25:26], v[27:28], v[31:32]
	v_fma_f64 v[27:28], v[15:16], s[2:3], v[33:34]
	v_fma_f64 v[17:18], v[19:20], s[8:9], v[17:18]
	;; [unrolled: 1-line block ×3, first 2 shown]
	s_mov_b32 s3, 0x3febb67a
	v_fma_f64 v[40:41], v[23:24], s[0:1], v[0:1]
	scratch_load_b32 v0, off, off offset:236 ; 4-byte Folded Reload
	v_add_f64 v[11:12], v[11:12], v[48:49]
	v_fma_f64 v[15:16], v[23:24], s[0:1], v[27:28]
	v_fma_f64 v[17:18], v[25:26], s[0:1], v[17:18]
	;; [unrolled: 1-line block ×3, first 2 shown]
	s_mov_b32 s0, 0xe8584caa
	s_mov_b32 s1, 0xbfebb67a
	;; [unrolled: 1-line block ×3, first 2 shown]
	s_delay_alu instid0(VALU_DEP_4)
	v_add_f64 v[11:12], v[11:12], v[52:53]
	s_waitcnt vmcnt(0)
	ds_store_b128 v0, v[11:14]
	ds_store_b128 v0, v[15:18] offset:160
	ds_store_b128 v0, v[3:6] offset:320
	ds_store_b128 v0, v[7:10] offset:480
	ds_store_b128 v0, v[40:43] offset:640
	s_waitcnt lgkmcnt(0)
	s_barrier
	buffer_gl0_inv
	ds_load_b128 v[3:6], v253 offset:2400
	s_waitcnt lgkmcnt(0)
	v_mul_f64 v[0:1], v[110:111], v[5:6]
	s_delay_alu instid0(VALU_DEP_1) | instskip(SKIP_1) | instid1(VALU_DEP_1)
	v_fma_f64 v[0:1], v[108:109], v[3:4], v[0:1]
	v_mul_f64 v[2:3], v[110:111], v[3:4]
	v_fma_f64 v[7:8], v[108:109], v[5:6], -v[2:3]
	ds_load_b128 v[3:6], v253 offset:4800
	s_waitcnt lgkmcnt(0)
	v_mul_f64 v[9:10], v[114:115], v[5:6]
	s_delay_alu instid0(VALU_DEP_1) | instskip(SKIP_1) | instid1(VALU_DEP_1)
	v_fma_f64 v[9:10], v[112:113], v[3:4], v[9:10]
	v_mul_f64 v[2:3], v[114:115], v[3:4]
	v_fma_f64 v[11:12], v[112:113], v[5:6], -v[2:3]
	ds_load_b128 v[3:6], v253 offset:2880
	s_waitcnt lgkmcnt(0)
	v_mul_f64 v[13:14], v[118:119], v[5:6]
	v_add_f64 v[15:16], v[7:8], v[11:12]
	v_add_f64 v[17:18], v[7:8], -v[11:12]
	s_delay_alu instid0(VALU_DEP_3) | instskip(SKIP_1) | instid1(VALU_DEP_1)
	v_fma_f64 v[19:20], v[116:117], v[3:4], v[13:14]
	v_mul_f64 v[2:3], v[118:119], v[3:4]
	v_fma_f64 v[21:22], v[116:117], v[5:6], -v[2:3]
	ds_load_b128 v[3:6], v253 offset:5280
	s_waitcnt lgkmcnt(0)
	v_mul_f64 v[13:14], v[122:123], v[5:6]
	s_delay_alu instid0(VALU_DEP_1) | instskip(SKIP_1) | instid1(VALU_DEP_1)
	v_fma_f64 v[23:24], v[120:121], v[3:4], v[13:14]
	v_mul_f64 v[2:3], v[122:123], v[3:4]
	v_fma_f64 v[25:26], v[120:121], v[5:6], -v[2:3]
	ds_load_b128 v[3:6], v253 offset:3360
	s_waitcnt lgkmcnt(0)
	v_mul_f64 v[13:14], v[126:127], v[5:6]
	v_add_f64 v[39:40], v[21:22], v[25:26]
	s_delay_alu instid0(VALU_DEP_2) | instskip(SKIP_1) | instid1(VALU_DEP_1)
	v_fma_f64 v[27:28], v[124:125], v[3:4], v[13:14]
	v_mul_f64 v[2:3], v[126:127], v[3:4]
	v_fma_f64 v[29:30], v[124:125], v[5:6], -v[2:3]
	ds_load_b128 v[3:6], v253 offset:5760
	s_waitcnt lgkmcnt(0)
	v_mul_f64 v[13:14], v[130:131], v[5:6]
	s_delay_alu instid0(VALU_DEP_1) | instskip(SKIP_1) | instid1(VALU_DEP_1)
	v_fma_f64 v[31:32], v[128:129], v[3:4], v[13:14]
	v_mul_f64 v[2:3], v[130:131], v[3:4]
	v_fma_f64 v[33:34], v[128:129], v[5:6], -v[2:3]
	ds_load_b128 v[3:6], v253 offset:3840
	s_waitcnt lgkmcnt(0)
	v_mul_f64 v[13:14], v[134:135], v[5:6]
	s_delay_alu instid0(VALU_DEP_1) | instskip(SKIP_1) | instid1(VALU_DEP_1)
	;; [unrolled: 7-line block ×4, first 2 shown]
	v_fma_f64 v[64:65], v[140:141], v[3:4], v[13:14]
	v_mul_f64 v[2:3], v[142:143], v[3:4]
	v_fma_f64 v[66:67], v[140:141], v[5:6], -v[2:3]
	ds_load_b128 v[3:6], v253 offset:6720
	s_waitcnt lgkmcnt(0)
	v_mul_f64 v[13:14], v[146:147], v[5:6]
	s_delay_alu instid0(VALU_DEP_1) | instskip(SKIP_2) | instid1(VALU_DEP_2)
	v_fma_f64 v[68:69], v[144:145], v[3:4], v[13:14]
	v_mul_f64 v[2:3], v[146:147], v[3:4]
	v_add_f64 v[13:14], v[0:1], v[9:10]
	v_fma_f64 v[70:71], v[144:145], v[5:6], -v[2:3]
	ds_load_b128 v[3:6], v253
	s_waitcnt lgkmcnt(0)
	v_fma_f64 v[13:14], v[13:14], -0.5, v[3:4]
	v_fma_f64 v[15:16], v[15:16], -0.5, v[5:6]
	v_add_f64 v[5:6], v[5:6], v[7:8]
	v_add_f64 v[2:3], v[3:4], v[0:1]
	v_add_f64 v[0:1], v[0:1], -v[9:10]
	v_fma_f64 v[7:8], v[17:18], s[0:1], v[13:14]
	s_delay_alu instid0(VALU_DEP_4) | instskip(NEXT) | instid1(VALU_DEP_4)
	v_add_f64 v[5:6], v[5:6], v[11:12]
	v_add_f64 v[3:4], v[2:3], v[9:10]
	v_fma_f64 v[11:12], v[17:18], s[2:3], v[13:14]
	v_fma_f64 v[9:10], v[0:1], s[2:3], v[15:16]
	;; [unrolled: 1-line block ×3, first 2 shown]
	v_add_f64 v[0:1], v[19:20], v[23:24]
	ds_load_b128 v[15:18], v253 offset:480
	ds_load_b128 v[48:51], v253 offset:1920
	;; [unrolled: 1-line block ×4, first 2 shown]
	s_waitcnt lgkmcnt(0)
	s_barrier
	buffer_gl0_inv
	ds_store_b128 v253, v[3:6]
	ds_store_b128 v253, v[7:10] offset:800
	ds_store_b128 v253, v[11:14] offset:1600
	v_fma_f64 v[46:47], v[39:40], -0.5, v[17:18]
	v_add_f64 v[17:18], v[17:18], v[21:22]
	v_fma_f64 v[0:1], v[0:1], -0.5, v[15:16]
	v_add_f64 v[21:22], v[21:22], -v[25:26]
	v_add_f64 v[15:16], v[15:16], v[19:20]
	v_add_f64 v[19:20], v[19:20], -v[23:24]
	v_add_f64 v[4:5], v[52:53], v[27:28]
	v_add_f64 v[8:9], v[29:30], -v[33:34]
	v_add_f64 v[12:13], v[27:28], -v[31:32]
	v_add_f64 v[17:18], v[17:18], v[25:26]
	v_fma_f64 v[40:41], v[21:22], s[0:1], v[0:1]
	v_fma_f64 v[44:45], v[21:22], s[2:3], v[0:1]
	scratch_load_b32 v0, off, off offset:252 ; 4-byte Folded Reload
	v_add_f64 v[15:16], v[15:16], v[23:24]
	v_fma_f64 v[42:43], v[19:20], s[2:3], v[46:47]
	v_fma_f64 v[46:47], v[19:20], s[0:1], v[46:47]
	v_add_f64 v[22:23], v[37:38], -v[62:63]
	v_add_f64 v[24:25], v[35:36], -v[60:61]
	s_waitcnt vmcnt(0)
	ds_store_b128 v0, v[15:18]
	ds_store_b128 v0, v[40:43] offset:800
	ds_store_b128 v0, v[44:47] offset:1600
	v_add_f64 v[0:1], v[27:28], v[31:32]
	v_add_f64 v[16:17], v[56:57], v[35:36]
	s_delay_alu instid0(VALU_DEP_2) | instskip(SKIP_1) | instid1(VALU_DEP_1)
	v_fma_f64 v[6:7], v[0:1], -0.5, v[52:53]
	v_add_f64 v[0:1], v[29:30], v[33:34]
	v_fma_f64 v[10:11], v[0:1], -0.5, v[54:55]
	v_add_f64 v[0:1], v[54:55], v[29:30]
	s_delay_alu instid0(VALU_DEP_1)
	v_add_f64 v[2:3], v[0:1], v[33:34]
	v_add_f64 v[0:1], v[4:5], v[31:32]
	v_fma_f64 v[4:5], v[8:9], s[0:1], v[6:7]
	v_fma_f64 v[8:9], v[8:9], s[2:3], v[6:7]
	;; [unrolled: 1-line block ×4, first 2 shown]
	ds_store_b128 v253, v[0:3] offset:2560
	ds_store_b128 v253, v[4:7] offset:3360
	;; [unrolled: 1-line block ×3, first 2 shown]
	scratch_load_b32 v0, off, off offset:248 ; 4-byte Folded Reload
	v_add_f64 v[12:13], v[35:36], v[60:61]
	v_add_f64 v[4:5], v[48:49], v[64:65]
	v_add_f64 v[8:9], v[66:67], -v[70:71]
	s_delay_alu instid0(VALU_DEP_3) | instskip(SKIP_1) | instid1(VALU_DEP_2)
	v_fma_f64 v[18:19], v[12:13], -0.5, v[56:57]
	v_add_f64 v[12:13], v[37:38], v[62:63]
	v_fma_f64 v[40:41], v[22:23], s[2:3], v[18:19]
	s_delay_alu instid0(VALU_DEP_2) | instskip(SKIP_1) | instid1(VALU_DEP_2)
	v_fma_f64 v[20:21], v[12:13], -0.5, v[58:59]
	v_add_f64 v[12:13], v[58:59], v[37:38]
	v_fma_f64 v[42:43], v[24:25], s[0:1], v[20:21]
	s_delay_alu instid0(VALU_DEP_2)
	v_add_f64 v[14:15], v[12:13], v[62:63]
	v_add_f64 v[12:13], v[16:17], v[60:61]
	v_fma_f64 v[16:17], v[22:23], s[0:1], v[18:19]
	v_fma_f64 v[18:19], v[24:25], s[2:3], v[20:21]
	s_waitcnt vmcnt(0)
	ds_store_b128 v0, v[12:15]
	ds_store_b128 v0, v[16:19] offset:800
	ds_store_b128 v0, v[40:43] offset:1600
	v_add_f64 v[0:1], v[64:65], v[68:69]
	v_add_f64 v[12:13], v[64:65], -v[68:69]
	s_delay_alu instid0(VALU_DEP_2) | instskip(SKIP_1) | instid1(VALU_DEP_1)
	v_fma_f64 v[6:7], v[0:1], -0.5, v[48:49]
	v_add_f64 v[0:1], v[66:67], v[70:71]
	v_fma_f64 v[10:11], v[0:1], -0.5, v[50:51]
	v_add_f64 v[0:1], v[50:51], v[66:67]
	s_delay_alu instid0(VALU_DEP_1)
	v_add_f64 v[2:3], v[0:1], v[70:71]
	v_add_f64 v[0:1], v[4:5], v[68:69]
	v_fma_f64 v[4:5], v[8:9], s[0:1], v[6:7]
	v_fma_f64 v[8:9], v[8:9], s[2:3], v[6:7]
	;; [unrolled: 1-line block ×4, first 2 shown]
	scratch_load_b32 v12, off, off offset:240 ; 4-byte Folded Reload
	s_waitcnt vmcnt(0)
	ds_store_b128 v12, v[0:3] offset:4800
	ds_store_b128 v12, v[4:7] offset:5600
	ds_store_b128 v12, v[8:11] offset:6400
	s_waitcnt lgkmcnt(0)
	s_barrier
	buffer_gl0_inv
	ds_load_b128 v[0:3], v253 offset:2400
	ds_load_b128 v[68:71], v253 offset:1920
	ds_load_b128 v[44:47], v253 offset:960
	ds_load_b128 v[56:59], v253 offset:1440
	s_waitcnt lgkmcnt(3)
	v_mul_f64 v[4:5], v[150:151], v[2:3]
	s_delay_alu instid0(VALU_DEP_1) | instskip(SKIP_1) | instid1(VALU_DEP_1)
	v_fma_f64 v[4:5], v[148:149], v[0:1], v[4:5]
	v_mul_f64 v[0:1], v[150:151], v[0:1]
	v_fma_f64 v[6:7], v[148:149], v[2:3], -v[0:1]
	ds_load_b128 v[0:3], v253 offset:4800
	s_waitcnt lgkmcnt(0)
	v_mul_f64 v[8:9], v[154:155], v[2:3]
	s_delay_alu instid0(VALU_DEP_1) | instskip(SKIP_1) | instid1(VALU_DEP_1)
	v_fma_f64 v[8:9], v[152:153], v[0:1], v[8:9]
	v_mul_f64 v[0:1], v[154:155], v[0:1]
	v_fma_f64 v[10:11], v[152:153], v[2:3], -v[0:1]
	ds_load_b128 v[0:3], v253 offset:2880
	s_waitcnt lgkmcnt(0)
	v_mul_f64 v[12:13], v[158:159], v[2:3]
	v_add_f64 v[14:15], v[6:7], v[10:11]
	s_delay_alu instid0(VALU_DEP_2) | instskip(SKIP_1) | instid1(VALU_DEP_1)
	v_fma_f64 v[16:17], v[156:157], v[0:1], v[12:13]
	v_mul_f64 v[0:1], v[158:159], v[0:1]
	v_fma_f64 v[18:19], v[156:157], v[2:3], -v[0:1]
	ds_load_b128 v[0:3], v253 offset:5280
	s_waitcnt lgkmcnt(0)
	v_mul_f64 v[12:13], v[162:163], v[2:3]
	s_delay_alu instid0(VALU_DEP_1) | instskip(SKIP_1) | instid1(VALU_DEP_2)
	v_fma_f64 v[20:21], v[160:161], v[0:1], v[12:13]
	v_mul_f64 v[0:1], v[162:163], v[0:1]
	v_add_f64 v[40:41], v[16:17], v[20:21]
	s_delay_alu instid0(VALU_DEP_2) | instskip(SKIP_4) | instid1(VALU_DEP_2)
	v_fma_f64 v[22:23], v[160:161], v[2:3], -v[0:1]
	ds_load_b128 v[0:3], v253 offset:3360
	s_waitcnt lgkmcnt(0)
	v_mul_f64 v[12:13], v[166:167], v[2:3]
	v_add_f64 v[42:43], v[18:19], v[22:23]
	v_fma_f64 v[24:25], v[164:165], v[0:1], v[12:13]
	v_mul_f64 v[0:1], v[166:167], v[0:1]
	s_delay_alu instid0(VALU_DEP_1) | instskip(SKIP_3) | instid1(VALU_DEP_1)
	v_fma_f64 v[26:27], v[164:165], v[2:3], -v[0:1]
	ds_load_b128 v[0:3], v253 offset:5760
	s_waitcnt lgkmcnt(0)
	v_mul_f64 v[12:13], v[170:171], v[2:3]
	v_fma_f64 v[28:29], v[168:169], v[0:1], v[12:13]
	v_mul_f64 v[0:1], v[170:171], v[0:1]
	s_delay_alu instid0(VALU_DEP_1) | instskip(SKIP_3) | instid1(VALU_DEP_1)
	v_fma_f64 v[30:31], v[168:169], v[2:3], -v[0:1]
	ds_load_b128 v[0:3], v253 offset:3840
	s_waitcnt lgkmcnt(0)
	v_mul_f64 v[12:13], v[174:175], v[2:3]
	;; [unrolled: 7-line block ×5, first 2 shown]
	v_fma_f64 v[76:77], v[184:185], v[0:1], v[12:13]
	v_mul_f64 v[0:1], v[186:187], v[0:1]
	v_add_f64 v[12:13], v[4:5], v[8:9]
	s_delay_alu instid0(VALU_DEP_2)
	v_fma_f64 v[78:79], v[184:185], v[2:3], -v[0:1]
	ds_load_b128 v[0:3], v253
	s_waitcnt lgkmcnt(0)
	v_fma_f64 v[14:15], v[14:15], -0.5, v[2:3]
	v_add_f64 v[2:3], v[2:3], v[6:7]
	v_fma_f64 v[12:13], v[12:13], -0.5, v[0:1]
	v_add_f64 v[0:1], v[0:1], v[4:5]
	v_add_f64 v[6:7], v[6:7], -v[10:11]
	s_delay_alu instid0(VALU_DEP_4) | instskip(SKIP_1) | instid1(VALU_DEP_4)
	v_add_f64 v[2:3], v[2:3], v[10:11]
	v_add_f64 v[10:11], v[4:5], -v[8:9]
	v_add_f64 v[0:1], v[0:1], v[8:9]
	s_delay_alu instid0(VALU_DEP_4) | instskip(SKIP_1) | instid1(VALU_DEP_4)
	v_fma_f64 v[4:5], v[6:7], s[0:1], v[12:13]
	v_fma_f64 v[8:9], v[6:7], s[2:3], v[12:13]
	;; [unrolled: 1-line block ×4, first 2 shown]
	ds_load_b128 v[12:15], v253 offset:480
	s_waitcnt lgkmcnt(0)
	v_fma_f64 v[40:41], v[40:41], -0.5, v[12:13]
	v_add_f64 v[12:13], v[12:13], v[16:17]
	v_fma_f64 v[42:43], v[42:43], -0.5, v[14:15]
	v_add_f64 v[14:15], v[14:15], v[18:19]
	v_add_f64 v[18:19], v[18:19], -v[22:23]
	s_delay_alu instid0(VALU_DEP_4) | instskip(SKIP_1) | instid1(VALU_DEP_4)
	v_add_f64 v[12:13], v[12:13], v[20:21]
	v_add_f64 v[20:21], v[16:17], -v[20:21]
	v_add_f64 v[14:15], v[14:15], v[22:23]
	s_delay_alu instid0(VALU_DEP_4)
	v_fma_f64 v[16:17], v[18:19], s[0:1], v[40:41]
	v_fma_f64 v[40:41], v[18:19], s[2:3], v[40:41]
	v_add_f64 v[22:23], v[26:27], v[30:31]
	v_fma_f64 v[18:19], v[20:21], s[2:3], v[42:43]
	v_fma_f64 v[42:43], v[20:21], s[0:1], v[42:43]
	v_add_f64 v[20:21], v[24:25], v[28:29]
	s_delay_alu instid0(VALU_DEP_4) | instskip(SKIP_2) | instid1(VALU_DEP_4)
	v_fma_f64 v[22:23], v[22:23], -0.5, v[46:47]
	v_add_f64 v[46:47], v[46:47], v[26:27]
	v_add_f64 v[26:27], v[26:27], -v[30:31]
	v_fma_f64 v[20:21], v[20:21], -0.5, v[44:45]
	v_add_f64 v[44:45], v[44:45], v[24:25]
	v_add_f64 v[24:25], v[24:25], -v[28:29]
	v_add_f64 v[46:47], v[46:47], v[30:31]
	s_delay_alu instid0(VALU_DEP_4) | instskip(SKIP_1) | instid1(VALU_DEP_4)
	v_fma_f64 v[48:49], v[26:27], s[0:1], v[20:21]
	v_fma_f64 v[52:53], v[26:27], s[2:3], v[20:21]
	v_fma_f64 v[50:51], v[24:25], s[2:3], v[22:23]
	v_fma_f64 v[54:55], v[24:25], s[0:1], v[22:23]
	v_add_f64 v[20:21], v[32:33], v[36:37]
	v_add_f64 v[22:23], v[34:35], v[38:39]
	;; [unrolled: 1-line block ×4, first 2 shown]
	v_add_f64 v[28:29], v[34:35], -v[38:39]
	v_add_f64 v[26:27], v[56:57], v[32:33]
	v_fma_f64 v[20:21], v[20:21], -0.5, v[56:57]
	v_fma_f64 v[22:23], v[22:23], -0.5, v[58:59]
	v_add_f64 v[58:59], v[24:25], v[38:39]
	v_add_f64 v[24:25], v[32:33], -v[36:37]
	v_add_f64 v[56:57], v[26:27], v[36:37]
	v_add_f64 v[26:27], v[68:69], v[72:73]
	v_fma_f64 v[60:61], v[28:29], s[0:1], v[20:21]
	v_fma_f64 v[64:65], v[28:29], s[2:3], v[20:21]
	v_add_f64 v[20:21], v[72:73], v[76:77]
	v_fma_f64 v[62:63], v[24:25], s[2:3], v[22:23]
	v_fma_f64 v[66:67], v[24:25], s[0:1], v[22:23]
	v_add_f64 v[22:23], v[74:75], v[78:79]
	v_add_f64 v[24:25], v[70:71], v[74:75]
	v_add_f64 v[28:29], v[74:75], -v[78:79]
	v_fma_f64 v[20:21], v[20:21], -0.5, v[68:69]
	v_add_f64 v[68:69], v[26:27], v[76:77]
	v_fma_f64 v[22:23], v[22:23], -0.5, v[70:71]
	v_add_f64 v[70:71], v[24:25], v[78:79]
	v_add_f64 v[24:25], v[72:73], -v[76:77]
	v_fma_f64 v[72:73], v[28:29], s[0:1], v[20:21]
	v_fma_f64 v[76:77], v[28:29], s[2:3], v[20:21]
	s_delay_alu instid0(VALU_DEP_3)
	v_fma_f64 v[74:75], v[24:25], s[2:3], v[22:23]
	v_fma_f64 v[78:79], v[24:25], s[0:1], v[22:23]
	ds_store_b128 v253, v[0:3]
	ds_store_b128 v252, v[12:15] offset:480
	ds_store_b128 v252, v[44:47] offset:960
	;; [unrolled: 1-line block ×14, first 2 shown]
	s_waitcnt lgkmcnt(0)
	s_barrier
	buffer_gl0_inv
	s_clause 0x3
	scratch_load_b128 v[6:9], off, off offset:28
	scratch_load_b128 v[10:13], off, off offset:44
	;; [unrolled: 1-line block ×4, first 2 shown]
	ds_load_b128 v[0:3], v253
	s_clause 0x5
	scratch_load_b128 v[22:25], off, off offset:92
	scratch_load_b128 v[26:29], off, off offset:108
	;; [unrolled: 1-line block ×6, first 2 shown]
	s_mov_b32 s2, 0x789abcdf
	s_mov_b32 s3, 0x3f623456
	s_mul_i32 s1, s5, 45
	scratch_load_b32 v46, off, off offset:24 ; 4-byte Folded Reload
	s_waitcnt vmcnt(10) lgkmcnt(0)
	v_mul_f64 v[4:5], v[8:9], v[2:3]
	s_delay_alu instid0(VALU_DEP_1) | instskip(SKIP_1) | instid1(VALU_DEP_1)
	v_fma_f64 v[4:5], v[6:7], v[0:1], v[4:5]
	v_mul_f64 v[0:1], v[8:9], v[0:1]
	v_fma_f64 v[6:7], v[6:7], v[2:3], -v[0:1]
	ds_load_b128 v[0:3], v253 offset:720
	s_waitcnt vmcnt(9) lgkmcnt(0)
	v_mul_f64 v[8:9], v[12:13], v[2:3]
	s_delay_alu instid0(VALU_DEP_1) | instskip(SKIP_1) | instid1(VALU_DEP_1)
	v_fma_f64 v[8:9], v[10:11], v[0:1], v[8:9]
	v_mul_f64 v[0:1], v[12:13], v[0:1]
	v_fma_f64 v[10:11], v[10:11], v[2:3], -v[0:1]
	ds_load_b128 v[0:3], v253 offset:1440
	;; [unrolled: 7-line block ×9, first 2 shown]
	s_waitcnt vmcnt(1) lgkmcnt(0)
	v_mul_f64 v[40:41], v[44:45], v[2:3]
	s_delay_alu instid0(VALU_DEP_1) | instskip(SKIP_1) | instid1(VALU_DEP_1)
	v_fma_f64 v[40:41], v[42:43], v[0:1], v[40:41]
	v_mul_f64 v[0:1], v[44:45], v[0:1]
	v_fma_f64 v[42:43], v[42:43], v[2:3], -v[0:1]
	scratch_load_b64 v[0:1], off, off offset:16 ; 8-byte Folded Reload
	s_waitcnt vmcnt(0)
	v_mov_b32_e32 v44, v0
	s_delay_alu instid0(VALU_DEP_1) | instskip(SKIP_1) | instid1(SALU_CYCLE_1)
	v_mad_u64_u32 v[0:1], null, s6, v44, 0
	s_mul_hi_u32 s6, s4, 45
	s_add_i32 s1, s6, s1
	s_delay_alu instid0(VALU_DEP_1) | instskip(NEXT) | instid1(VALU_DEP_1)
	v_mad_u64_u32 v[2:3], null, s7, v44, v[1:2]
	v_mov_b32_e32 v1, v2
	v_mad_u64_u32 v[2:3], null, s4, v46, 0
	s_delay_alu instid0(VALU_DEP_2) | instskip(NEXT) | instid1(VALU_DEP_2)
	v_lshlrev_b64 v[0:1], 4, v[0:1]
	v_mad_u64_u32 v[44:45], null, s5, v46, v[3:4]
	s_delay_alu instid0(VALU_DEP_1) | instskip(NEXT) | instid1(VALU_DEP_3)
	v_mov_b32_e32 v3, v44
	v_add_co_u32 v44, s0, s10, v0
	s_delay_alu instid0(VALU_DEP_1) | instskip(NEXT) | instid1(VALU_DEP_3)
	v_add_co_ci_u32_e64 v45, s0, s11, v1, s0
	v_lshlrev_b64 v[0:1], 4, v[2:3]
	v_mul_f64 v[2:3], v[6:7], s[2:3]
	v_mul_f64 v[6:7], v[18:19], s[2:3]
	v_mul_f64 v[18:19], v[30:31], s[2:3]
	v_mul_f64 v[30:31], v[42:43], s[2:3]
	v_add_co_u32 v44, s0, v44, v0
	s_delay_alu instid0(VALU_DEP_1)
	v_add_co_ci_u32_e64 v45, s0, v45, v1, s0
	v_mul_f64 v[0:1], v[4:5], s[2:3]
	s_mul_i32 s0, s4, 45
	v_mul_f64 v[4:5], v[16:17], s[2:3]
	s_lshl_b64 s[6:7], s[0:1], 4
	v_mul_f64 v[16:17], v[28:29], s[2:3]
	v_mul_f64 v[28:29], v[40:41], s[2:3]
	global_store_b128 v[44:45], v[0:3], off
	v_mul_f64 v[0:1], v[8:9], s[2:3]
	v_mul_f64 v[2:3], v[10:11], s[2:3]
	v_add_co_u32 v8, s0, v44, s6
	s_delay_alu instid0(VALU_DEP_1) | instskip(SKIP_1) | instid1(VALU_DEP_3)
	v_add_co_ci_u32_e64 v9, s0, s7, v45, s0
	v_mul_f64 v[10:11], v[22:23], s[2:3]
	v_add_co_u32 v44, s0, v8, s6
	s_delay_alu instid0(VALU_DEP_1)
	v_add_co_ci_u32_e64 v45, s0, s7, v9, s0
	v_mul_f64 v[22:23], v[34:35], s[2:3]
	global_store_b128 v[8:9], v[0:3], off
	v_mul_f64 v[0:1], v[12:13], s[2:3]
	v_mul_f64 v[2:3], v[14:15], s[2:3]
	;; [unrolled: 1-line block ×8, first 2 shown]
	global_store_b128 v[44:45], v[0:3], off
	v_add_co_u32 v0, s0, v44, s6
	s_delay_alu instid0(VALU_DEP_1) | instskip(NEXT) | instid1(VALU_DEP_2)
	v_add_co_ci_u32_e64 v1, s0, s7, v45, s0
	v_add_co_u32 v2, s0, v0, s6
	s_delay_alu instid0(VALU_DEP_1) | instskip(SKIP_2) | instid1(VALU_DEP_1)
	v_add_co_ci_u32_e64 v3, s0, s7, v1, s0
	global_store_b128 v[0:1], v[4:7], off
	v_add_co_u32 v32, s0, v2, s6
	v_add_co_ci_u32_e64 v33, s0, s7, v3, s0
	global_store_b128 v[2:3], v[8:11], off
	v_add_co_u32 v4, s0, v32, s6
	s_delay_alu instid0(VALU_DEP_1) | instskip(NEXT) | instid1(VALU_DEP_2)
	v_add_co_ci_u32_e64 v5, s0, s7, v33, s0
	v_add_co_u32 v6, s0, v4, s6
	s_delay_alu instid0(VALU_DEP_1) | instskip(NEXT) | instid1(VALU_DEP_2)
	v_add_co_ci_u32_e64 v7, s0, s7, v5, s0
	;; [unrolled: 3-line block ×3, first 2 shown]
	v_add_co_u32 v0, s0, v34, s6
	s_delay_alu instid0(VALU_DEP_1)
	v_add_co_ci_u32_e64 v1, s0, s7, v35, s0
	global_store_b128 v[32:33], v[12:15], off
	global_store_b128 v[4:5], v[16:19], off
	;; [unrolled: 1-line block ×5, first 2 shown]
	s_and_b32 exec_lo, exec_lo, vcc_lo
	s_cbranch_execz .LBB0_15
; %bb.14:
	scratch_load_b64 v[20:21], off, off     ; 8-byte Folded Reload
	s_mul_i32 s0, s5, 0xffffe890
	s_delay_alu instid0(SALU_CYCLE_1)
	s_sub_i32 s0, s0, s4
	s_waitcnt vmcnt(0)
	global_load_b128 v[2:5], v[20:21], off offset:480
	ds_load_b128 v[6:9], v252 offset:480
	ds_load_b128 v[10:13], v252 offset:1920
	s_waitcnt vmcnt(0) lgkmcnt(1)
	v_mul_f64 v[14:15], v[8:9], v[4:5]
	v_mul_f64 v[4:5], v[6:7], v[4:5]
	s_delay_alu instid0(VALU_DEP_2) | instskip(NEXT) | instid1(VALU_DEP_2)
	v_fma_f64 v[6:7], v[6:7], v[2:3], v[14:15]
	v_fma_f64 v[4:5], v[2:3], v[8:9], -v[4:5]
	v_mad_u64_u32 v[8:9], null, 0xffffe890, s4, v[0:1]
	s_delay_alu instid0(VALU_DEP_1) | instskip(NEXT) | instid1(VALU_DEP_4)
	v_add_nc_u32_e32 v9, s0, v9
	v_mul_f64 v[2:3], v[6:7], s[2:3]
	s_delay_alu instid0(VALU_DEP_4)
	v_mul_f64 v[4:5], v[4:5], s[2:3]
	global_store_b128 v[8:9], v[2:5], off
	global_load_b128 v[0:3], v[20:21], off offset:1200
	ds_load_b128 v[4:7], v253 offset:1200
	ds_load_b128 v[14:17], v253 offset:2640
	s_waitcnt vmcnt(0) lgkmcnt(1)
	v_mul_f64 v[18:19], v[6:7], v[2:3]
	v_mul_f64 v[2:3], v[4:5], v[2:3]
	s_delay_alu instid0(VALU_DEP_2) | instskip(NEXT) | instid1(VALU_DEP_2)
	v_fma_f64 v[4:5], v[4:5], v[0:1], v[18:19]
	v_fma_f64 v[2:3], v[0:1], v[6:7], -v[2:3]
	s_delay_alu instid0(VALU_DEP_2) | instskip(NEXT) | instid1(VALU_DEP_2)
	v_mul_f64 v[0:1], v[4:5], s[2:3]
	v_mul_f64 v[2:3], v[2:3], s[2:3]
	v_add_co_u32 v4, vcc_lo, v8, s6
	v_add_co_ci_u32_e32 v5, vcc_lo, s7, v9, vcc_lo
	global_store_b128 v[4:5], v[0:3], off
	global_load_b128 v[0:3], v[20:21], off offset:1920
	v_add_co_u32 v4, vcc_lo, v4, s6
	v_add_co_ci_u32_e32 v5, vcc_lo, s7, v5, vcc_lo
	s_waitcnt vmcnt(0)
	v_mul_f64 v[6:7], v[12:13], v[2:3]
	v_mul_f64 v[2:3], v[10:11], v[2:3]
	s_delay_alu instid0(VALU_DEP_2) | instskip(NEXT) | instid1(VALU_DEP_2)
	v_fma_f64 v[6:7], v[10:11], v[0:1], v[6:7]
	v_fma_f64 v[2:3], v[0:1], v[12:13], -v[2:3]
	v_add_co_u32 v12, vcc_lo, v4, s6
	v_add_co_ci_u32_e32 v13, vcc_lo, s7, v5, vcc_lo
	s_delay_alu instid0(VALU_DEP_4) | instskip(NEXT) | instid1(VALU_DEP_4)
	v_mul_f64 v[0:1], v[6:7], s[2:3]
	v_mul_f64 v[2:3], v[2:3], s[2:3]
	global_store_b128 v[4:5], v[0:3], off
	global_load_b128 v[0:3], v[20:21], off offset:2640
	s_waitcnt vmcnt(0) lgkmcnt(0)
	v_mul_f64 v[6:7], v[16:17], v[2:3]
	v_mul_f64 v[2:3], v[14:15], v[2:3]
	s_delay_alu instid0(VALU_DEP_2) | instskip(NEXT) | instid1(VALU_DEP_2)
	v_fma_f64 v[6:7], v[14:15], v[0:1], v[6:7]
	v_fma_f64 v[2:3], v[0:1], v[16:17], -v[2:3]
	s_delay_alu instid0(VALU_DEP_2) | instskip(NEXT) | instid1(VALU_DEP_2)
	v_mul_f64 v[0:1], v[6:7], s[2:3]
	v_mul_f64 v[2:3], v[2:3], s[2:3]
	global_store_b128 v[12:13], v[0:3], off
	global_load_b128 v[0:3], v[20:21], off offset:3360
	ds_load_b128 v[4:7], v253 offset:3360
	ds_load_b128 v[8:11], v253 offset:4080
	scratch_load_b64 v[16:17], off, off offset:8 ; 8-byte Folded Reload
	s_waitcnt vmcnt(1) lgkmcnt(1)
	v_mul_f64 v[14:15], v[6:7], v[2:3]
	v_mul_f64 v[2:3], v[4:5], v[2:3]
	s_delay_alu instid0(VALU_DEP_2) | instskip(NEXT) | instid1(VALU_DEP_2)
	v_fma_f64 v[4:5], v[4:5], v[0:1], v[14:15]
	v_fma_f64 v[2:3], v[0:1], v[6:7], -v[2:3]
	s_delay_alu instid0(VALU_DEP_2) | instskip(NEXT) | instid1(VALU_DEP_2)
	v_mul_f64 v[0:1], v[4:5], s[2:3]
	v_mul_f64 v[2:3], v[2:3], s[2:3]
	v_add_co_u32 v4, vcc_lo, v12, s6
	v_add_co_ci_u32_e32 v5, vcc_lo, s7, v13, vcc_lo
	s_delay_alu instid0(VALU_DEP_2) | instskip(NEXT) | instid1(VALU_DEP_2)
	v_add_co_u32 v12, vcc_lo, v4, s6
	v_add_co_ci_u32_e32 v13, vcc_lo, s7, v5, vcc_lo
	global_store_b128 v[4:5], v[0:3], off
	global_load_b128 v[0:3], v[20:21], off offset:4080
	s_waitcnt vmcnt(0) lgkmcnt(0)
	v_mul_f64 v[6:7], v[10:11], v[2:3]
	v_mul_f64 v[2:3], v[8:9], v[2:3]
	s_delay_alu instid0(VALU_DEP_2) | instskip(NEXT) | instid1(VALU_DEP_2)
	v_fma_f64 v[6:7], v[8:9], v[0:1], v[6:7]
	v_fma_f64 v[2:3], v[0:1], v[10:11], -v[2:3]
	s_delay_alu instid0(VALU_DEP_2) | instskip(NEXT) | instid1(VALU_DEP_2)
	v_mul_f64 v[0:1], v[6:7], s[2:3]
	v_mul_f64 v[2:3], v[2:3], s[2:3]
	global_store_b128 v[12:13], v[0:3], off
	global_load_b128 v[0:3], v[16:17], off offset:704
	ds_load_b128 v[4:7], v253 offset:4800
	ds_load_b128 v[8:11], v253 offset:5520
	s_waitcnt vmcnt(0) lgkmcnt(1)
	v_mul_f64 v[14:15], v[6:7], v[2:3]
	v_mul_f64 v[2:3], v[4:5], v[2:3]
	s_delay_alu instid0(VALU_DEP_2) | instskip(NEXT) | instid1(VALU_DEP_2)
	v_fma_f64 v[4:5], v[4:5], v[0:1], v[14:15]
	v_fma_f64 v[2:3], v[0:1], v[6:7], -v[2:3]
	s_delay_alu instid0(VALU_DEP_2) | instskip(NEXT) | instid1(VALU_DEP_2)
	v_mul_f64 v[0:1], v[4:5], s[2:3]
	v_mul_f64 v[2:3], v[2:3], s[2:3]
	v_add_co_u32 v4, vcc_lo, v12, s6
	v_add_co_ci_u32_e32 v5, vcc_lo, s7, v13, vcc_lo
	s_delay_alu instid0(VALU_DEP_2) | instskip(NEXT) | instid1(VALU_DEP_2)
	v_add_co_u32 v12, vcc_lo, v4, s6
	v_add_co_ci_u32_e32 v13, vcc_lo, s7, v5, vcc_lo
	global_store_b128 v[4:5], v[0:3], off
	global_load_b128 v[0:3], v[16:17], off offset:1424
	s_waitcnt vmcnt(0) lgkmcnt(0)
	v_mul_f64 v[6:7], v[10:11], v[2:3]
	v_mul_f64 v[2:3], v[8:9], v[2:3]
	s_delay_alu instid0(VALU_DEP_2) | instskip(NEXT) | instid1(VALU_DEP_2)
	v_fma_f64 v[6:7], v[8:9], v[0:1], v[6:7]
	v_fma_f64 v[2:3], v[0:1], v[10:11], -v[2:3]
	s_delay_alu instid0(VALU_DEP_2) | instskip(NEXT) | instid1(VALU_DEP_2)
	v_mul_f64 v[0:1], v[6:7], s[2:3]
	v_mul_f64 v[2:3], v[2:3], s[2:3]
	global_store_b128 v[12:13], v[0:3], off
	global_load_b128 v[0:3], v[16:17], off offset:2144
	ds_load_b128 v[4:7], v253 offset:6240
	ds_load_b128 v[8:11], v253 offset:6960
	s_waitcnt vmcnt(0) lgkmcnt(1)
	v_mul_f64 v[14:15], v[6:7], v[2:3]
	v_mul_f64 v[2:3], v[4:5], v[2:3]
	s_delay_alu instid0(VALU_DEP_2) | instskip(NEXT) | instid1(VALU_DEP_2)
	v_fma_f64 v[4:5], v[4:5], v[0:1], v[14:15]
	v_fma_f64 v[2:3], v[0:1], v[6:7], -v[2:3]
	s_delay_alu instid0(VALU_DEP_2) | instskip(NEXT) | instid1(VALU_DEP_2)
	v_mul_f64 v[0:1], v[4:5], s[2:3]
	v_mul_f64 v[2:3], v[2:3], s[2:3]
	v_add_co_u32 v4, vcc_lo, v12, s6
	v_add_co_ci_u32_e32 v5, vcc_lo, s7, v13, vcc_lo
	global_store_b128 v[4:5], v[0:3], off
	global_load_b128 v[0:3], v[16:17], off offset:2864
	v_add_co_u32 v4, vcc_lo, v4, s6
	v_add_co_ci_u32_e32 v5, vcc_lo, s7, v5, vcc_lo
	s_waitcnt vmcnt(0) lgkmcnt(0)
	v_mul_f64 v[6:7], v[10:11], v[2:3]
	v_mul_f64 v[2:3], v[8:9], v[2:3]
	s_delay_alu instid0(VALU_DEP_2) | instskip(NEXT) | instid1(VALU_DEP_2)
	v_fma_f64 v[6:7], v[8:9], v[0:1], v[6:7]
	v_fma_f64 v[2:3], v[0:1], v[10:11], -v[2:3]
	s_delay_alu instid0(VALU_DEP_2) | instskip(NEXT) | instid1(VALU_DEP_2)
	v_mul_f64 v[0:1], v[6:7], s[2:3]
	v_mul_f64 v[2:3], v[2:3], s[2:3]
	global_store_b128 v[4:5], v[0:3], off
.LBB0_15:
	s_nop 0
	s_sendmsg sendmsg(MSG_DEALLOC_VGPRS)
	s_endpgm
	.section	.rodata,"a",@progbits
	.p2align	6, 0x0
	.amdhsa_kernel bluestein_single_back_len450_dim1_dp_op_CI_CI
		.amdhsa_group_segment_fixed_size 28800
		.amdhsa_private_segment_fixed_size 268
		.amdhsa_kernarg_size 104
		.amdhsa_user_sgpr_count 15
		.amdhsa_user_sgpr_dispatch_ptr 0
		.amdhsa_user_sgpr_queue_ptr 0
		.amdhsa_user_sgpr_kernarg_segment_ptr 1
		.amdhsa_user_sgpr_dispatch_id 0
		.amdhsa_user_sgpr_private_segment_size 0
		.amdhsa_wavefront_size32 1
		.amdhsa_uses_dynamic_stack 0
		.amdhsa_enable_private_segment 1
		.amdhsa_system_sgpr_workgroup_id_x 1
		.amdhsa_system_sgpr_workgroup_id_y 0
		.amdhsa_system_sgpr_workgroup_id_z 0
		.amdhsa_system_sgpr_workgroup_info 0
		.amdhsa_system_vgpr_workitem_id 0
		.amdhsa_next_free_vgpr 256
		.amdhsa_next_free_sgpr 23
		.amdhsa_reserve_vcc 1
		.amdhsa_float_round_mode_32 0
		.amdhsa_float_round_mode_16_64 0
		.amdhsa_float_denorm_mode_32 3
		.amdhsa_float_denorm_mode_16_64 3
		.amdhsa_dx10_clamp 1
		.amdhsa_ieee_mode 1
		.amdhsa_fp16_overflow 0
		.amdhsa_workgroup_processor_mode 1
		.amdhsa_memory_ordered 1
		.amdhsa_forward_progress 0
		.amdhsa_shared_vgpr_count 0
		.amdhsa_exception_fp_ieee_invalid_op 0
		.amdhsa_exception_fp_denorm_src 0
		.amdhsa_exception_fp_ieee_div_zero 0
		.amdhsa_exception_fp_ieee_overflow 0
		.amdhsa_exception_fp_ieee_underflow 0
		.amdhsa_exception_fp_ieee_inexact 0
		.amdhsa_exception_int_div_zero 0
	.end_amdhsa_kernel
	.text
.Lfunc_end0:
	.size	bluestein_single_back_len450_dim1_dp_op_CI_CI, .Lfunc_end0-bluestein_single_back_len450_dim1_dp_op_CI_CI
                                        ; -- End function
	.section	.AMDGPU.csdata,"",@progbits
; Kernel info:
; codeLenInByte = 22280
; NumSgprs: 25
; NumVgprs: 256
; ScratchSize: 268
; MemoryBound: 0
; FloatMode: 240
; IeeeMode: 1
; LDSByteSize: 28800 bytes/workgroup (compile time only)
; SGPRBlocks: 3
; VGPRBlocks: 31
; NumSGPRsForWavesPerEU: 25
; NumVGPRsForWavesPerEU: 256
; Occupancy: 4
; WaveLimiterHint : 1
; COMPUTE_PGM_RSRC2:SCRATCH_EN: 1
; COMPUTE_PGM_RSRC2:USER_SGPR: 15
; COMPUTE_PGM_RSRC2:TRAP_HANDLER: 0
; COMPUTE_PGM_RSRC2:TGID_X_EN: 1
; COMPUTE_PGM_RSRC2:TGID_Y_EN: 0
; COMPUTE_PGM_RSRC2:TGID_Z_EN: 0
; COMPUTE_PGM_RSRC2:TIDIG_COMP_CNT: 0
	.text
	.p2alignl 7, 3214868480
	.fill 96, 4, 3214868480
	.type	__hip_cuid_4c93a298c7c428c,@object ; @__hip_cuid_4c93a298c7c428c
	.section	.bss,"aw",@nobits
	.globl	__hip_cuid_4c93a298c7c428c
__hip_cuid_4c93a298c7c428c:
	.byte	0                               ; 0x0
	.size	__hip_cuid_4c93a298c7c428c, 1

	.ident	"AMD clang version 19.0.0git (https://github.com/RadeonOpenCompute/llvm-project roc-6.4.0 25133 c7fe45cf4b819c5991fe208aaa96edf142730f1d)"
	.section	".note.GNU-stack","",@progbits
	.addrsig
	.addrsig_sym __hip_cuid_4c93a298c7c428c
	.amdgpu_metadata
---
amdhsa.kernels:
  - .args:
      - .actual_access:  read_only
        .address_space:  global
        .offset:         0
        .size:           8
        .value_kind:     global_buffer
      - .actual_access:  read_only
        .address_space:  global
        .offset:         8
        .size:           8
        .value_kind:     global_buffer
      - .actual_access:  read_only
        .address_space:  global
        .offset:         16
        .size:           8
        .value_kind:     global_buffer
      - .actual_access:  read_only
        .address_space:  global
        .offset:         24
        .size:           8
        .value_kind:     global_buffer
      - .actual_access:  read_only
        .address_space:  global
        .offset:         32
        .size:           8
        .value_kind:     global_buffer
      - .offset:         40
        .size:           8
        .value_kind:     by_value
      - .address_space:  global
        .offset:         48
        .size:           8
        .value_kind:     global_buffer
      - .address_space:  global
        .offset:         56
        .size:           8
        .value_kind:     global_buffer
      - .address_space:  global
        .offset:         64
        .size:           8
        .value_kind:     global_buffer
      - .address_space:  global
        .offset:         72
        .size:           8
        .value_kind:     global_buffer
      - .offset:         80
        .size:           4
        .value_kind:     by_value
      - .address_space:  global
        .offset:         88
        .size:           8
        .value_kind:     global_buffer
      - .address_space:  global
        .offset:         96
        .size:           8
        .value_kind:     global_buffer
    .group_segment_fixed_size: 28800
    .kernarg_segment_align: 8
    .kernarg_segment_size: 104
    .language:       OpenCL C
    .language_version:
      - 2
      - 0
    .max_flat_workgroup_size: 120
    .name:           bluestein_single_back_len450_dim1_dp_op_CI_CI
    .private_segment_fixed_size: 268
    .sgpr_count:     25
    .sgpr_spill_count: 0
    .symbol:         bluestein_single_back_len450_dim1_dp_op_CI_CI.kd
    .uniform_work_group_size: 1
    .uses_dynamic_stack: false
    .vgpr_count:     256
    .vgpr_spill_count: 66
    .wavefront_size: 32
    .workgroup_processor_mode: 1
amdhsa.target:   amdgcn-amd-amdhsa--gfx1100
amdhsa.version:
  - 1
  - 2
...

	.end_amdgpu_metadata
